;; amdgpu-corpus repo=ROCm/rocFFT kind=compiled arch=gfx950 opt=O3
	.text
	.amdgcn_target "amdgcn-amd-amdhsa--gfx950"
	.amdhsa_code_object_version 6
	.protected	fft_rtc_back_len884_factors_13_4_17_wgs_204_tpt_68_halfLds_sp_op_CI_CI_unitstride_sbrr_C2R_dirReg ; -- Begin function fft_rtc_back_len884_factors_13_4_17_wgs_204_tpt_68_halfLds_sp_op_CI_CI_unitstride_sbrr_C2R_dirReg
	.globl	fft_rtc_back_len884_factors_13_4_17_wgs_204_tpt_68_halfLds_sp_op_CI_CI_unitstride_sbrr_C2R_dirReg
	.p2align	8
	.type	fft_rtc_back_len884_factors_13_4_17_wgs_204_tpt_68_halfLds_sp_op_CI_CI_unitstride_sbrr_C2R_dirReg,@function
fft_rtc_back_len884_factors_13_4_17_wgs_204_tpt_68_halfLds_sp_op_CI_CI_unitstride_sbrr_C2R_dirReg: ; @fft_rtc_back_len884_factors_13_4_17_wgs_204_tpt_68_halfLds_sp_op_CI_CI_unitstride_sbrr_C2R_dirReg
; %bb.0:
	s_load_dwordx4 s[4:7], s[0:1], 0x58
	s_load_dwordx4 s[8:11], s[0:1], 0x0
	;; [unrolled: 1-line block ×3, first 2 shown]
	v_mul_u32_u24_e32 v1, 0x3c4, v0
	v_lshrrev_b32_e32 v2, 16, v1
	v_mad_u64_u32 v[4:5], s[2:3], s2, 3, v[2:3]
	v_mov_b32_e32 v6, 0
	v_mov_b32_e32 v5, v6
	s_waitcnt lgkmcnt(0)
	v_cmp_lt_u64_e64 s[2:3], s[10:11], 2
	v_mov_b64_e32 v[2:3], 0
	s_and_b64 vcc, exec, s[2:3]
	v_mov_b64_e32 v[38:39], v[2:3]
	v_mov_b64_e32 v[40:41], v[4:5]
	s_cbranch_vccnz .LBB0_8
; %bb.1:
	s_load_dwordx2 s[2:3], s[0:1], 0x10
	s_add_u32 s16, s14, 8
	s_addc_u32 s17, s15, 0
	s_add_u32 s18, s12, 8
	s_addc_u32 s19, s13, 0
	s_waitcnt lgkmcnt(0)
	s_add_u32 s20, s2, 8
	v_mov_b64_e32 v[2:3], 0
	s_addc_u32 s21, s3, 0
	s_mov_b64 s[22:23], 1
	v_mov_b64_e32 v[38:39], v[2:3]
	v_mov_b64_e32 v[8:9], v[4:5]
.LBB0_2:                                ; =>This Inner Loop Header: Depth=1
	s_load_dwordx2 s[24:25], s[20:21], 0x0
                                        ; implicit-def: $vgpr40_vgpr41
	s_waitcnt lgkmcnt(0)
	v_or_b32_e32 v7, s25, v9
	v_cmp_ne_u64_e32 vcc, 0, v[6:7]
	s_and_saveexec_b64 s[2:3], vcc
	s_xor_b64 s[26:27], exec, s[2:3]
	s_cbranch_execz .LBB0_4
; %bb.3:                                ;   in Loop: Header=BB0_2 Depth=1
	v_cvt_f32_u32_e32 v1, s24
	v_cvt_f32_u32_e32 v5, s25
	s_sub_u32 s2, 0, s24
	s_subb_u32 s3, 0, s25
	v_fmac_f32_e32 v1, 0x4f800000, v5
	v_rcp_f32_e32 v1, v1
	s_nop 0
	v_mul_f32_e32 v1, 0x5f7ffffc, v1
	v_mul_f32_e32 v5, 0x2f800000, v1
	v_trunc_f32_e32 v5, v5
	v_fmac_f32_e32 v1, 0xcf800000, v5
	v_cvt_u32_f32_e32 v5, v5
	v_cvt_u32_f32_e32 v1, v1
	v_mul_lo_u32 v7, s2, v5
	v_mul_hi_u32 v10, s2, v1
	v_mul_lo_u32 v11, s3, v1
	v_add_u32_e32 v7, v10, v7
	v_mul_lo_u32 v14, s2, v1
	v_add_u32_e32 v7, v7, v11
	v_mul_hi_u32 v10, v1, v14
	v_mul_hi_u32 v13, v1, v7
	v_mul_lo_u32 v12, v1, v7
	v_mov_b32_e32 v11, v6
	v_lshl_add_u64 v[10:11], v[10:11], 0, v[12:13]
	v_mul_hi_u32 v13, v5, v14
	v_mul_lo_u32 v14, v5, v14
	v_add_co_u32_e32 v10, vcc, v10, v14
	v_mul_hi_u32 v12, v5, v7
	s_nop 0
	v_addc_co_u32_e32 v10, vcc, v11, v13, vcc
	v_mov_b32_e32 v11, v6
	s_nop 0
	v_addc_co_u32_e32 v13, vcc, 0, v12, vcc
	v_mul_lo_u32 v12, v5, v7
	v_lshl_add_u64 v[10:11], v[10:11], 0, v[12:13]
	v_add_co_u32_e32 v1, vcc, v1, v10
	v_mul_hi_u32 v10, s2, v1
	s_nop 0
	v_addc_co_u32_e32 v5, vcc, v5, v11, vcc
	v_mul_lo_u32 v7, s2, v5
	v_add_u32_e32 v7, v10, v7
	v_mul_lo_u32 v10, s3, v1
	v_add_u32_e32 v7, v7, v10
	v_mul_lo_u32 v12, s2, v1
	v_mul_hi_u32 v15, v5, v12
	v_mul_lo_u32 v16, v5, v12
	v_mul_hi_u32 v11, v1, v7
	;; [unrolled: 2-line block ×3, first 2 shown]
	v_mov_b32_e32 v13, v6
	v_lshl_add_u64 v[10:11], v[12:13], 0, v[10:11]
	v_add_co_u32_e32 v10, vcc, v10, v16
	v_mul_hi_u32 v14, v5, v7
	s_nop 0
	v_addc_co_u32_e32 v10, vcc, v11, v15, vcc
	v_mul_lo_u32 v12, v5, v7
	s_nop 0
	v_addc_co_u32_e32 v13, vcc, 0, v14, vcc
	v_mov_b32_e32 v11, v6
	v_lshl_add_u64 v[10:11], v[10:11], 0, v[12:13]
	v_add_co_u32_e32 v1, vcc, v1, v10
	v_mul_hi_u32 v12, v8, v1
	s_nop 0
	v_addc_co_u32_e32 v5, vcc, v5, v11, vcc
	v_mad_u64_u32 v[10:11], s[2:3], v8, v5, 0
	v_mov_b32_e32 v13, v6
	v_lshl_add_u64 v[10:11], v[12:13], 0, v[10:11]
	v_mad_u64_u32 v[14:15], s[2:3], v9, v1, 0
	v_add_co_u32_e32 v1, vcc, v10, v14
	v_mad_u64_u32 v[12:13], s[2:3], v9, v5, 0
	s_nop 0
	v_addc_co_u32_e32 v10, vcc, v11, v15, vcc
	v_mov_b32_e32 v11, v6
	s_nop 0
	v_addc_co_u32_e32 v13, vcc, 0, v13, vcc
	v_lshl_add_u64 v[10:11], v[10:11], 0, v[12:13]
	v_mul_lo_u32 v1, s25, v10
	v_mul_lo_u32 v5, s24, v11
	v_mad_u64_u32 v[12:13], s[2:3], s24, v10, 0
	v_add3_u32 v1, v13, v5, v1
	v_sub_u32_e32 v5, v9, v1
	v_mov_b32_e32 v7, s25
	v_sub_co_u32_e32 v16, vcc, v8, v12
	v_lshl_add_u64 v[14:15], v[10:11], 0, 1
	s_nop 0
	v_subb_co_u32_e64 v5, s[2:3], v5, v7, vcc
	v_subrev_co_u32_e64 v7, s[2:3], s24, v16
	v_subb_co_u32_e32 v1, vcc, v9, v1, vcc
	s_nop 0
	v_subbrev_co_u32_e64 v5, s[2:3], 0, v5, s[2:3]
	v_cmp_le_u32_e64 s[2:3], s25, v5
	v_cmp_le_u32_e32 vcc, s25, v1
	s_nop 0
	v_cndmask_b32_e64 v12, 0, -1, s[2:3]
	v_cmp_le_u32_e64 s[2:3], s24, v7
	s_nop 1
	v_cndmask_b32_e64 v7, 0, -1, s[2:3]
	v_cmp_eq_u32_e64 s[2:3], s25, v5
	s_nop 1
	v_cndmask_b32_e64 v5, v12, v7, s[2:3]
	v_lshl_add_u64 v[12:13], v[10:11], 0, 2
	v_cmp_ne_u32_e64 s[2:3], 0, v5
	v_cndmask_b32_e64 v7, 0, -1, vcc
	v_cmp_le_u32_e32 vcc, s24, v16
	v_cndmask_b32_e64 v5, v15, v13, s[2:3]
	s_nop 0
	v_cndmask_b32_e64 v13, 0, -1, vcc
	v_cmp_eq_u32_e32 vcc, s25, v1
	s_nop 1
	v_cndmask_b32_e32 v1, v7, v13, vcc
	v_cmp_ne_u32_e32 vcc, 0, v1
	v_cndmask_b32_e64 v1, v14, v12, s[2:3]
	s_nop 0
	v_cndmask_b32_e32 v41, v11, v5, vcc
	v_cndmask_b32_e32 v40, v10, v1, vcc
.LBB0_4:                                ;   in Loop: Header=BB0_2 Depth=1
	s_andn2_saveexec_b64 s[2:3], s[26:27]
	s_cbranch_execz .LBB0_6
; %bb.5:                                ;   in Loop: Header=BB0_2 Depth=1
	v_cvt_f32_u32_e32 v1, s24
	s_sub_i32 s26, 0, s24
	v_mov_b32_e32 v41, v6
	v_rcp_iflag_f32_e32 v1, v1
	s_nop 0
	v_mul_f32_e32 v1, 0x4f7ffffe, v1
	v_cvt_u32_f32_e32 v1, v1
	v_mul_lo_u32 v5, s26, v1
	v_mul_hi_u32 v5, v1, v5
	v_add_u32_e32 v1, v1, v5
	v_mul_hi_u32 v1, v8, v1
	v_mul_lo_u32 v5, v1, s24
	v_sub_u32_e32 v5, v8, v5
	v_add_u32_e32 v7, 1, v1
	v_subrev_u32_e32 v10, s24, v5
	v_cmp_le_u32_e32 vcc, s24, v5
	s_nop 1
	v_cndmask_b32_e32 v5, v5, v10, vcc
	v_cndmask_b32_e32 v1, v1, v7, vcc
	v_add_u32_e32 v7, 1, v1
	v_cmp_le_u32_e32 vcc, s24, v5
	s_nop 1
	v_cndmask_b32_e32 v40, v1, v7, vcc
.LBB0_6:                                ;   in Loop: Header=BB0_2 Depth=1
	s_or_b64 exec, exec, s[2:3]
	v_mad_u64_u32 v[10:11], s[2:3], v40, s24, 0
	s_load_dwordx2 s[2:3], s[18:19], 0x0
	s_add_u32 s22, s22, 1
	v_mul_lo_u32 v1, v41, s24
	v_mul_lo_u32 v5, v40, s25
	s_load_dwordx2 s[24:25], s[16:17], 0x0
	s_addc_u32 s23, s23, 0
	v_add3_u32 v1, v11, v5, v1
	v_sub_co_u32_e32 v5, vcc, v8, v10
	s_add_u32 s16, s16, 8
	s_nop 0
	v_subb_co_u32_e32 v1, vcc, v9, v1, vcc
	s_addc_u32 s17, s17, 0
	s_waitcnt lgkmcnt(0)
	v_mul_lo_u32 v7, s2, v1
	v_mul_lo_u32 v8, s3, v5
	v_mad_u64_u32 v[2:3], s[2:3], s2, v5, v[2:3]
	s_add_u32 s18, s18, 8
	v_add3_u32 v3, v8, v3, v7
	s_addc_u32 s19, s19, 0
	v_mov_b64_e32 v[8:9], s[10:11]
	v_mul_lo_u32 v1, s24, v1
	v_mul_lo_u32 v7, s25, v5
	v_mad_u64_u32 v[38:39], s[2:3], s24, v5, v[38:39]
	s_add_u32 s20, s20, 8
	v_cmp_ge_u64_e32 vcc, s[22:23], v[8:9]
	v_add3_u32 v39, v7, v39, v1
	s_addc_u32 s21, s21, 0
	s_cbranch_vccnz .LBB0_8
; %bb.7:                                ;   in Loop: Header=BB0_2 Depth=1
	v_mov_b64_e32 v[8:9], v[40:41]
	s_branch .LBB0_2
.LBB0_8:
	s_load_dwordx2 s[18:19], s[0:1], 0x28
	s_mov_b32 s0, 0xaaaaaaab
	v_mul_hi_u32 v1, v4, s0
	s_lshl_b64 s[16:17], s[10:11], 3
	v_lshrrev_b32_e32 v1, 1, v1
	s_add_u32 s2, s14, s16
	v_lshl_add_u32 v1, v1, 1, v1
	s_addc_u32 s3, s15, s17
	v_sub_u32_e32 v1, v4, v1
	s_waitcnt lgkmcnt(0)
	v_cmp_gt_u64_e64 s[0:1], s[18:19], v[40:41]
	v_cmp_le_u64_e32 vcc, s[18:19], v[40:41]
                                        ; implicit-def: $vgpr42
	s_and_saveexec_b64 s[10:11], vcc
	s_xor_b64 s[10:11], exec, s[10:11]
; %bb.9:
	s_mov_b32 s14, 0x3c3c3c4
	v_mul_hi_u32 v2, v0, s14
	v_mul_u32_u24_e32 v2, 0x44, v2
	v_sub_u32_e32 v42, v0, v2
                                        ; implicit-def: $vgpr0
                                        ; implicit-def: $vgpr2_vgpr3
; %bb.10:
	s_or_saveexec_b64 s[10:11], s[10:11]
	s_load_dwordx2 s[2:3], s[2:3], 0x0
	v_mul_u32_u24_e32 v4, 0x375, v1
	v_lshlrev_b32_e32 v96, 3, v4
	s_xor_b64 exec, exec, s[10:11]
	s_cbranch_execz .LBB0_14
; %bb.11:
	s_add_u32 s12, s12, s16
	s_addc_u32 s13, s13, s17
	s_load_dwordx2 s[12:13], s[12:13], 0x0
	s_mov_b32 s14, 0x3c3c3c4
	s_waitcnt lgkmcnt(0)
	v_mul_lo_u32 v1, s13, v40
	v_mul_lo_u32 v5, s12, v41
	v_mad_u64_u32 v[6:7], s[12:13], s12, v40, 0
	v_add3_u32 v7, v7, v5, v1
	v_mul_hi_u32 v1, v0, s14
	v_mul_u32_u24_e32 v1, 0x44, v1
	v_sub_u32_e32 v42, v0, v1
	v_lshl_add_u64 v[0:1], v[6:7], 3, s[4:5]
	v_lshl_add_u64 v[0:1], v[2:3], 3, v[0:1]
	v_lshlrev_b32_e32 v2, 3, v42
	v_mov_b32_e32 v3, 0
	v_lshl_add_u64 v[6:7], v[0:1], 0, v[2:3]
	s_movk_i32 s4, 0x1000
	global_load_dwordx2 v[8:9], v[6:7], off
	global_load_dwordx2 v[10:11], v[6:7], off offset:544
	global_load_dwordx2 v[12:13], v[6:7], off offset:1088
	;; [unrolled: 1-line block ×7, first 2 shown]
	v_add_co_u32_e32 v6, vcc, s4, v6
	s_movk_i32 s4, 0x43
	s_nop 0
	v_addc_co_u32_e32 v7, vcc, 0, v7, vcc
	global_load_dwordx2 v[24:25], v[6:7], off offset:256
	global_load_dwordx2 v[26:27], v[6:7], off offset:800
	;; [unrolled: 1-line block ×5, first 2 shown]
	v_add3_u32 v2, 0, v96, v2
	v_cmp_eq_u32_e32 vcc, s4, v42
	v_add_u32_e32 v3, 0x800, v2
	v_add_u32_e32 v5, 0x1000, v2
	s_waitcnt vmcnt(11)
	ds_write2_b64 v2, v[8:9], v[10:11] offset1:68
	s_waitcnt vmcnt(9)
	ds_write2_b64 v2, v[12:13], v[14:15] offset0:136 offset1:204
	s_waitcnt vmcnt(7)
	ds_write2_b64 v3, v[16:17], v[18:19] offset0:16 offset1:84
	;; [unrolled: 2-line block ×5, first 2 shown]
	s_waitcnt vmcnt(0)
	ds_write_b64 v2, v[32:33] offset:6528
	s_and_saveexec_b64 s[4:5], vcc
	s_cbranch_execz .LBB0_13
; %bb.12:
	v_add_co_u32_e32 v0, vcc, 0x1000, v0
	v_mov_b32_e32 v42, 0x43
	s_nop 0
	v_addc_co_u32_e32 v1, vcc, 0, v1, vcc
	global_load_dwordx2 v[0:1], v[0:1], off offset:2976
	s_waitcnt vmcnt(0)
	ds_write_b64 v2, v[0:1] offset:6536
.LBB0_13:
	s_or_b64 exec, exec, s[4:5]
.LBB0_14:
	s_or_b64 exec, exec, s[10:11]
	v_lshl_add_u32 v184, v4, 3, 0
	v_lshlrev_b32_e32 v4, 3, v42
	v_add_u32_e32 v185, v184, v4
	s_waitcnt lgkmcnt(0)
	s_barrier
	v_sub_u32_e32 v5, v184, v4
	ds_read_b32 v0, v185
	ds_read_b32 v1, v5 offset:7072
	s_add_u32 s4, s8, 0x1b38
	s_addc_u32 s5, s9, 0
	v_cmp_ne_u32_e32 vcc, 0, v42
	s_waitcnt lgkmcnt(0)
	v_add_f32_e32 v2, v1, v0
	v_sub_f32_e32 v3, v0, v1
                                        ; implicit-def: $vgpr0_vgpr1
	s_and_saveexec_b64 s[10:11], vcc
	s_xor_b64 s[10:11], exec, s[10:11]
	s_cbranch_execz .LBB0_16
; %bb.15:
	v_mov_b32_e32 v43, 0
	v_lshl_add_u64 v[0:1], v[42:43], 3, s[4:5]
	global_load_dwordx2 v[6:7], v[0:1], off
	ds_read_b32 v11, v5 offset:7076
	ds_read_b32 v12, v185 offset:4
	v_mov_b32_e32 v8, v3
	v_mov_b32_e32 v10, v2
	;; [unrolled: 1-line block ×3, first 2 shown]
	v_mov_b64_e32 v[0:1], v[42:43]
	s_waitcnt lgkmcnt(0)
	v_add_f32_e32 v9, v11, v12
	v_sub_f32_e32 v11, v12, v11
	v_mov_b32_e32 v12, v9
	s_waitcnt vmcnt(0)
	v_pk_mul_f32 v[14:15], v[8:9], v[6:7] op_sel:[0,1]
	v_pk_fma_f32 v[8:9], v[8:9], v[6:7], v[10:11] op_sel:[0,1,0]
	v_mov_b32_e32 v3, v15
	v_mov_b32_e32 v15, v11
	v_pk_fma_f32 v[16:17], v[6:7], v[12:13], v[8:9] neg_lo:[1,0,0] neg_hi:[1,0,0]
	v_pk_fma_f32 v[8:9], v[6:7], v[12:13], v[8:9] op_sel_hi:[0,1,1]
	v_pk_add_f32 v[2:3], v[2:3], v[14:15] neg_lo:[0,1] neg_hi:[0,1]
	v_mov_b32_e32 v17, v9
	v_pk_fma_f32 v[2:3], v[6:7], v[12:13], v[2:3] op_sel_hi:[0,1,1]
	ds_write_b64 v5, v[2:3] offset:7072
	v_mov_b64_e32 v[2:3], v[16:17]
.LBB0_16:
	s_andn2_saveexec_b64 s[10:11], s[10:11]
	s_cbranch_execz .LBB0_18
; %bb.17:
	ds_read_b64 v[0:1], v184 offset:3536
	s_mov_b32 s12, 2.0
	s_mov_b32 s13, -2.0
	s_waitcnt lgkmcnt(0)
	v_pk_mul_f32 v[0:1], v[0:1], s[12:13]
	ds_write_b64 v184, v[0:1] offset:3536
	v_mov_b64_e32 v[0:1], 0
.LBB0_18:
	s_or_b64 exec, exec, s[10:11]
	v_lshl_add_u64 v[0:1], v[0:1], 3, s[4:5]
	global_load_dwordx2 v[6:7], v[0:1], off offset:544
	global_load_dwordx2 v[8:9], v[0:1], off offset:1088
	;; [unrolled: 1-line block ×4, first 2 shown]
	ds_write_b64 v185, v[2:3]
	ds_read_b64 v[2:3], v5 offset:6528
	ds_read_b64 v[14:15], v185 offset:544
	global_load_dwordx2 v[16:17], v[0:1], off offset:2720
	v_cmp_gt_u32_e32 vcc, 34, v42
	s_waitcnt lgkmcnt(0)
	v_pk_add_f32 v[18:19], v[14:15], v[2:3]
	v_pk_add_f32 v[2:3], v[14:15], v[2:3] neg_lo:[0,1] neg_hi:[0,1]
	v_mov_b32_e32 v14, v19
	v_mov_b32_e32 v15, v2
	v_mov_b32_e32 v19, v3
	s_waitcnt vmcnt(4)
	v_pk_mul_f32 v[20:21], v[14:15], v[6:7] op_sel:[0,1]
	s_nop 0
	v_pk_add_f32 v[22:23], v[18:19], v[20:21] op_sel:[0,1] op_sel_hi:[1,0]
	v_mov_b32_e32 v19, v20
	v_mov_b32_e32 v2, v21
	v_pk_fma_f32 v[20:21], v[6:7], v[14:15], v[22:23] neg_lo:[1,0,0] neg_hi:[1,0,0]
	v_pk_fma_f32 v[22:23], v[6:7], v[14:15], v[22:23] op_sel_hi:[0,1,1]
	v_pk_add_f32 v[2:3], v[18:19], v[2:3] neg_lo:[0,1] neg_hi:[0,1]
	v_mov_b32_e32 v21, v23
	v_pk_fma_f32 v[2:3], v[6:7], v[14:15], v[2:3] op_sel_hi:[0,1,1]
	ds_write_b64 v185, v[20:21] offset:544
	ds_write_b64 v5, v[2:3] offset:6528
	ds_read_b64 v[2:3], v5 offset:5984
	ds_read_b64 v[6:7], v185 offset:1088
	s_waitcnt lgkmcnt(0)
	v_pk_add_f32 v[14:15], v[6:7], v[2:3]
	v_pk_add_f32 v[2:3], v[6:7], v[2:3] neg_lo:[0,1] neg_hi:[0,1]
	v_mov_b32_e32 v6, v15
	v_mov_b32_e32 v7, v2
	v_mov_b32_e32 v15, v3
	s_waitcnt vmcnt(3)
	v_pk_mul_f32 v[18:19], v[6:7], v[8:9] op_sel:[0,1]
	s_nop 0
	v_pk_add_f32 v[20:21], v[14:15], v[18:19] op_sel:[0,1] op_sel_hi:[1,0]
	v_mov_b32_e32 v15, v18
	v_mov_b32_e32 v2, v19
	v_pk_fma_f32 v[18:19], v[8:9], v[6:7], v[20:21] neg_lo:[1,0,0] neg_hi:[1,0,0]
	v_pk_fma_f32 v[20:21], v[8:9], v[6:7], v[20:21] op_sel_hi:[0,1,1]
	v_pk_add_f32 v[2:3], v[14:15], v[2:3] neg_lo:[0,1] neg_hi:[0,1]
	v_mov_b32_e32 v19, v21
	v_pk_fma_f32 v[2:3], v[8:9], v[6:7], v[2:3] op_sel_hi:[0,1,1]
	ds_write_b64 v185, v[18:19] offset:1088
	ds_write_b64 v5, v[2:3] offset:5984
	ds_read_b64 v[2:3], v5 offset:5440
	ds_read_b64 v[6:7], v185 offset:1632
	;; [unrolled: 21-line block ×4, first 2 shown]
	s_waitcnt lgkmcnt(0)
	v_pk_add_f32 v[8:9], v[6:7], v[2:3]
	v_pk_add_f32 v[2:3], v[6:7], v[2:3] neg_lo:[0,1] neg_hi:[0,1]
	v_mov_b32_e32 v6, v9
	v_mov_b32_e32 v7, v2
	;; [unrolled: 1-line block ×3, first 2 shown]
	s_waitcnt vmcnt(0)
	v_pk_mul_f32 v[10:11], v[6:7], v[16:17] op_sel:[0,1]
	s_nop 0
	v_pk_add_f32 v[12:13], v[8:9], v[10:11] op_sel:[0,1] op_sel_hi:[1,0]
	v_mov_b32_e32 v9, v10
	v_mov_b32_e32 v2, v11
	v_pk_fma_f32 v[10:11], v[16:17], v[6:7], v[12:13] neg_lo:[1,0,0] neg_hi:[1,0,0]
	v_pk_fma_f32 v[12:13], v[16:17], v[6:7], v[12:13] op_sel_hi:[0,1,1]
	v_pk_add_f32 v[2:3], v[8:9], v[2:3] neg_lo:[0,1] neg_hi:[0,1]
	v_mov_b32_e32 v11, v13
	v_pk_fma_f32 v[2:3], v[16:17], v[6:7], v[2:3] op_sel_hi:[0,1,1]
	ds_write_b64 v185, v[10:11] offset:2720
	ds_write_b64 v5, v[2:3] offset:4352
	s_and_saveexec_b64 s[4:5], vcc
	s_cbranch_execz .LBB0_20
; %bb.19:
	global_load_dwordx2 v[0:1], v[0:1], off offset:3264
	ds_read_b64 v[2:3], v5 offset:3808
	ds_read_b64 v[6:7], v185 offset:3264
	s_waitcnt lgkmcnt(0)
	v_pk_add_f32 v[8:9], v[6:7], v[2:3]
	v_pk_add_f32 v[2:3], v[6:7], v[2:3] neg_lo:[0,1] neg_hi:[0,1]
	v_mov_b32_e32 v6, v9
	v_mov_b32_e32 v7, v2
	;; [unrolled: 1-line block ×3, first 2 shown]
	s_waitcnt vmcnt(0)
	v_pk_mul_f32 v[10:11], v[6:7], v[0:1] op_sel:[0,1]
	s_nop 0
	v_pk_add_f32 v[12:13], v[8:9], v[10:11] op_sel:[0,1] op_sel_hi:[1,0]
	v_mov_b32_e32 v9, v10
	v_mov_b32_e32 v2, v11
	v_pk_fma_f32 v[10:11], v[0:1], v[6:7], v[12:13] neg_lo:[1,0,0] neg_hi:[1,0,0]
	v_pk_fma_f32 v[12:13], v[0:1], v[6:7], v[12:13] op_sel_hi:[0,1,1]
	v_pk_add_f32 v[2:3], v[8:9], v[2:3] neg_lo:[0,1] neg_hi:[0,1]
	v_mov_b32_e32 v11, v13
	v_pk_fma_f32 v[0:1], v[0:1], v[6:7], v[2:3] op_sel_hi:[0,1,1]
	ds_write_b64 v185, v[10:11] offset:3264
	ds_write_b64 v5, v[0:1] offset:3808
.LBB0_20:
	s_or_b64 exec, exec, s[4:5]
	v_add3_u32 v43, 0, v4, v96
	v_add_u32_e32 v100, 0x400, v43
	v_add_u32_e32 v99, 0x800, v43
	;; [unrolled: 1-line block ×3, first 2 shown]
	s_waitcnt lgkmcnt(0)
	s_barrier
	s_barrier
	ds_read2_b64 v[10:13], v100 offset0:76 offset1:144
	ds_read2_b64 v[48:51], v99 offset0:84 offset1:152
	;; [unrolled: 1-line block ×3, first 2 shown]
	ds_read_b64 v[0:1], v185
	ds_read2_b64 v[4:7], v43 offset0:68 offset1:136
	v_add_u32_e32 v101, 0x1000, v43
	ds_read2_b64 v[28:31], v101 offset0:100 offset1:168
	v_add_u32_e32 v97, 0x1400, v43
	ds_read2_b64 v[22:25], v97 offset0:108 offset1:176
	s_waitcnt lgkmcnt(2)
	v_pk_add_f32 v[2:3], v[0:1], v[4:5]
	s_mov_b32 s4, 0xbeedf032
	v_pk_add_f32 v[2:3], v[2:3], v[6:7]
	s_mov_b32 s10, 0x3f62ad3f
	v_pk_add_f32 v[2:3], v[2:3], v[10:11]
	s_waitcnt lgkmcnt(0)
	v_pk_add_f32 v[18:19], v[4:5], v[24:25] neg_lo:[0,1] neg_hi:[0,1]
	v_pk_add_f32 v[2:3], v[2:3], v[12:13]
	v_pk_add_f32 v[16:17], v[24:25], v[4:5]
	;; [unrolled: 1-line block ×5, first 2 shown]
	s_mov_b32 s16, 0xbf52af12
	v_pk_add_f32 v[2:3], v[2:3], v[44:45]
	v_pk_add_f32 v[36:37], v[46:47], v[48:49]
	v_pk_add_f32 v[2:3], v[2:3], v[46:47]
	v_pk_add_f32 v[46:47], v[48:49], v[46:47] neg_lo:[0,1] neg_hi:[0,1]
	v_pk_add_f32 v[2:3], v[2:3], v[28:29]
	s_mov_b32 s14, 0x3f7e222b
	v_pk_add_f32 v[2:3], v[2:3], v[30:31]
	v_pk_add_f32 v[26:27], v[30:31], v[10:11]
	;; [unrolled: 1-line block ×3, first 2 shown]
	v_pk_add_f32 v[22:23], v[6:7], v[22:23] neg_lo:[0,1] neg_hi:[0,1]
	v_pk_add_f32 v[58:59], v[2:3], v[24:25]
	v_pk_mul_f32 v[2:3], v[18:19], s[4:5] op_sel_hi:[1,0]
	s_mov_b32 s4, 0x3f116cb1
	v_pk_fma_f32 v[4:5], v[16:17], s[10:11], v[2:3] op_sel:[0,0,1] op_sel_hi:[1,0,0]
	v_pk_fma_f32 v[2:3], v[16:17], s[10:11], v[2:3] op_sel:[0,0,1] op_sel_hi:[1,0,0] neg_lo:[0,0,1] neg_hi:[0,0,1]
	v_mov_b32_e32 v8, v4
	v_mov_b32_e32 v9, v3
	v_pk_mul_f32 v[6:7], v[22:23], s[16:17] op_sel_hi:[1,0]
	v_pk_add_f32 v[14:15], v[0:1], v[8:9]
	v_pk_fma_f32 v[8:9], v[20:21], s[4:5], v[6:7] op_sel:[0,0,1] op_sel_hi:[1,0,0]
	v_pk_fma_f32 v[6:7], v[20:21], s[4:5], v[6:7] op_sel:[0,0,1] op_sel_hi:[1,0,0] neg_lo:[0,0,1] neg_hi:[0,0,1]
	v_mov_b32_e32 v24, v8
	v_mov_b32_e32 v25, v7
	v_pk_add_f32 v[30:31], v[10:11], v[30:31] neg_lo:[0,1] neg_hi:[0,1]
	s_mov_b32 s12, 0x3df6dbef
	v_pk_mul_f32 v[10:11], v[46:47], s[14:15] op_sel_hi:[1,0]
	s_mov_b32 s22, 0xbf7e222b
	v_pk_add_f32 v[24:25], v[24:25], v[14:15]
	v_pk_add_f32 v[32:33], v[28:29], v[12:13]
	v_pk_add_f32 v[34:35], v[12:13], v[28:29] neg_lo:[0,1] neg_hi:[0,1]
	v_pk_fma_f32 v[12:13], v[36:37], s[12:13], v[10:11] op_sel:[0,0,1] op_sel_hi:[1,0,0]
	v_pk_fma_f32 v[10:11], v[36:37], s[12:13], v[10:11] op_sel:[0,0,1] op_sel_hi:[1,0,0] neg_lo:[0,0,1] neg_hi:[0,0,1]
	v_mov_b32_e32 v14, v26
	v_mov_b32_e32 v15, v30
	s_mov_b32 s13, s22
	v_pk_add_f32 v[48:49], v[44:45], v[50:51]
	v_pk_add_f32 v[52:53], v[50:51], v[44:45] neg_lo:[0,1] neg_hi:[0,1]
	v_mov_b32_e32 v28, v31
	v_mov_b32_e32 v29, v27
	s_mov_b32 s23, s12
	v_pk_mul_f32 v[44:45], v[14:15], s[12:13]
	s_mov_b32 s18, 0xbf6f5d39
	v_pk_fma_f32 v[50:51], v[28:29], s[22:23], v[44:45]
	v_pk_fma_f32 v[14:15], v[28:29], s[22:23], v[44:45] neg_lo:[1,0,0] neg_hi:[1,0,0]
	v_pk_fma_f32 v[28:29], v[28:29], s[22:23], v[44:45] neg_lo:[0,0,1] neg_hi:[0,0,1]
	s_mov_b32 s19, 0xbeb58ec6
	v_mov_b32_e32 v15, v51
	v_mov_b32_e32 v51, v29
	v_mov_b32_e32 v28, v32
	v_mov_b32_e32 v29, v34
	s_mov_b32 s20, s19
	s_mov_b32 s21, s18
	v_mov_b32_e32 v44, v35
	v_mov_b32_e32 v45, v33
	v_pk_mul_f32 v[28:29], v[28:29], s[20:21]
	v_pk_add_f32 v[24:25], v[50:51], v[24:25]
	v_pk_fma_f32 v[54:55], v[44:45], s[18:19], v[28:29]
	v_pk_fma_f32 v[50:51], v[44:45], s[18:19], v[28:29] neg_lo:[1,0,0] neg_hi:[1,0,0]
	v_pk_fma_f32 v[28:29], v[44:45], s[18:19], v[28:29] neg_lo:[0,0,1] neg_hi:[0,0,1]
	s_mov_b32 s36, 0x3f29c268
	s_mov_b32 s20, 0xbf3f9e67
	v_mov_b32_e32 v51, v55
	v_mov_b32_e32 v55, v29
	v_pk_mul_f32 v[44:45], v[34:35], s[36:37] op_sel_hi:[1,0]
	s_mov_b32 s24, 0xbf29c268
	v_pk_add_f32 v[54:55], v[54:55], v[24:25]
	v_pk_fma_f32 v[28:29], v[32:33], s[20:21], v[44:45] op_sel:[0,0,1] op_sel_hi:[1,0,0]
	v_pk_fma_f32 v[24:25], v[32:33], s[20:21], v[44:45] op_sel:[0,0,1] op_sel_hi:[1,0,0] neg_lo:[0,0,1] neg_hi:[0,0,1]
	v_mov_b32_e32 v56, v36
	v_mov_b32_e32 v57, v46
	s_mov_b32 s21, s24
	v_mov_b32_e32 v44, v47
	v_mov_b32_e32 v45, v37
	s_mov_b32 s25, s20
	v_pk_mul_f32 v[60:61], v[56:57], s[20:21]
	s_mov_b32 s28, 0xbe750f2a
	v_pk_fma_f32 v[62:63], v[44:45], s[24:25], v[60:61]
	v_pk_fma_f32 v[56:57], v[44:45], s[24:25], v[60:61] neg_lo:[1,0,0] neg_hi:[1,0,0]
	v_pk_fma_f32 v[44:45], v[44:45], s[24:25], v[60:61] neg_lo:[0,0,1] neg_hi:[0,0,1]
	v_mov_b32_e32 v57, v63
	v_mov_b32_e32 v63, v45
	s_mov_b32 s26, 0xbf788fa5
	v_pk_mul_f32 v[44:45], v[30:31], s[28:29] op_sel_hi:[1,0]
	v_pk_add_f32 v[60:61], v[62:63], v[54:55]
	v_pk_fma_f32 v[54:55], v[26:27], s[26:27], v[44:45] op_sel:[0,0,1] op_sel_hi:[1,0,0]
	v_pk_fma_f32 v[44:45], v[26:27], s[26:27], v[44:45] op_sel:[0,0,1] op_sel_hi:[1,0,0] neg_lo:[0,0,1] neg_hi:[0,0,1]
	v_mov_b32_e32 v62, v48
	v_mov_b32_e32 v63, v52
	s_mov_b32 s27, s28
	v_mov_b32_e32 v64, v53
	v_mov_b32_e32 v65, v49
	s_mov_b32 s29, s26
	v_pk_mul_f32 v[66:67], v[62:63], s[26:27]
	s_movk_i32 s5, 0x60
	v_pk_fma_f32 v[68:69], v[64:65], s[28:29], v[66:67]
	v_pk_fma_f32 v[62:63], v[64:65], s[28:29], v[66:67] neg_lo:[1,0,0] neg_hi:[1,0,0]
	v_pk_fma_f32 v[64:65], v[64:65], s[28:29], v[66:67] neg_lo:[0,0,1] neg_hi:[0,0,1]
	v_mov_b32_e32 v63, v69
	v_mov_b32_e32 v69, v65
	v_pk_add_f32 v[60:61], v[68:69], v[60:61]
	v_mad_u32_u24 v8, v42, s5, v43
	s_barrier
	ds_write2_b64 v8, v[58:59], v[60:61] offset1:1
	v_pk_mul_f32 v[60:61], v[18:19], s[16:17] op_sel_hi:[1,0]
	s_mov_b32 s30, s19
	v_pk_fma_f32 v[58:59], v[16:17], s[4:5], v[60:61] op_sel:[0,0,1] op_sel_hi:[1,0,0]
	v_pk_fma_f32 v[60:61], v[16:17], s[4:5], v[60:61] op_sel:[0,0,1] op_sel_hi:[1,0,0] neg_lo:[0,0,1] neg_hi:[0,0,1]
	v_mov_b32_e32 v64, v58
	v_mov_b32_e32 v65, v61
	v_pk_mul_f32 v[66:67], v[22:23], s[18:19] op_sel_hi:[1,0]
	v_pk_add_f32 v[68:69], v[0:1], v[64:65]
	v_pk_fma_f32 v[64:65], v[20:21], s[30:31], v[66:67] op_sel:[0,0,1] op_sel_hi:[1,0,0]
	v_pk_fma_f32 v[66:67], v[20:21], s[30:31], v[66:67] op_sel:[0,0,1] op_sel_hi:[1,0,0] neg_lo:[0,0,1] neg_hi:[0,0,1]
	v_mov_b32_e32 v70, v64
	v_mov_b32_e32 v71, v67
	v_pk_add_f32 v[68:69], v[70:71], v[68:69]
	v_mov_b32_e32 v70, v54
	v_mov_b32_e32 v71, v45
	v_pk_add_f32 v[68:69], v[70:71], v[68:69]
	;; [unrolled: 3-line block ×3, first 2 shown]
	v_mov_b32_e32 v70, v12
	v_mov_b32_e32 v71, v11
	s_mov_b32 s34, 0x3eedf032
	v_pk_add_f32 v[72:73], v[70:71], v[68:69]
	v_pk_mul_f32 v[68:69], v[52:53], s[34:35] op_sel_hi:[1,0]
	v_pk_mul_f32 v[78:79], v[22:23], s[28:29] op_sel_hi:[1,0]
	v_pk_fma_f32 v[70:71], v[48:49], s[10:11], v[68:69] op_sel:[0,0,1] op_sel_hi:[1,0,0]
	v_pk_fma_f32 v[68:69], v[48:49], s[10:11], v[68:69] op_sel:[0,0,1] op_sel_hi:[1,0,0] neg_lo:[0,0,1] neg_hi:[0,0,1]
	v_mov_b32_e32 v74, v70
	v_mov_b32_e32 v75, v69
	v_pk_add_f32 v[102:103], v[74:75], v[72:73]
	v_pk_mul_f32 v[72:73], v[18:19], s[22:23] op_sel_hi:[1,0]
	v_pk_fma_f32 v[80:81], v[20:21], s[26:27], v[78:79] op_sel:[0,0,1] op_sel_hi:[1,0,0]
	v_pk_fma_f32 v[74:75], v[16:17], s[12:13], v[72:73] op_sel:[0,0,1] op_sel_hi:[1,0,0]
	v_pk_fma_f32 v[72:73], v[16:17], s[12:13], v[72:73] op_sel:[0,0,1] op_sel_hi:[1,0,0] neg_lo:[0,0,1] neg_hi:[0,0,1]
	v_mov_b32_e32 v76, v74
	v_mov_b32_e32 v77, v73
	v_pk_fma_f32 v[78:79], v[20:21], s[26:27], v[78:79] op_sel:[0,0,1] op_sel_hi:[1,0,0] neg_lo:[0,0,1] neg_hi:[0,0,1]
	v_pk_add_f32 v[76:77], v[0:1], v[76:77]
	v_mov_b32_e32 v82, v80
	v_mov_b32_e32 v83, v79
	s_mov_b32 s38, 0x3f6f5d39
	v_pk_add_f32 v[84:85], v[82:83], v[76:77]
	v_pk_mul_f32 v[76:77], v[30:31], s[38:39] op_sel_hi:[1,0]
	v_pk_mul_f32 v[108:109], v[22:23], s[36:37] op_sel_hi:[1,0]
	v_pk_fma_f32 v[82:83], v[26:27], s[30:31], v[76:77] op_sel:[0,0,1] op_sel_hi:[1,0,0]
	v_pk_fma_f32 v[76:77], v[26:27], s[30:31], v[76:77] op_sel:[0,0,1] op_sel_hi:[1,0,0] neg_lo:[0,0,1] neg_hi:[0,0,1]
	v_mov_b32_e32 v86, v82
	v_mov_b32_e32 v87, v77
	v_pk_add_f32 v[88:89], v[86:87], v[84:85]
	v_pk_mul_f32 v[84:85], v[34:35], s[34:35] op_sel_hi:[1,0]
	v_pk_fma_f32 v[110:111], v[20:21], s[20:21], v[108:109] op_sel:[0,0,1] op_sel_hi:[1,0,0]
	v_pk_fma_f32 v[86:87], v[32:33], s[10:11], v[84:85] op_sel:[0,0,1] op_sel_hi:[1,0,0]
	v_pk_fma_f32 v[84:85], v[32:33], s[10:11], v[84:85] op_sel:[0,0,1] op_sel_hi:[1,0,0] neg_lo:[0,0,1] neg_hi:[0,0,1]
	v_mov_b32_e32 v90, v86
	v_mov_b32_e32 v91, v85
	v_pk_add_f32 v[92:93], v[90:91], v[88:89]
	v_pk_mul_f32 v[88:89], v[46:47], s[16:17] op_sel_hi:[1,0]
	v_pk_fma_f32 v[108:109], v[20:21], s[20:21], v[108:109] op_sel:[0,0,1] op_sel_hi:[1,0,0] neg_lo:[0,0,1] neg_hi:[0,0,1]
	v_pk_fma_f32 v[90:91], v[36:37], s[4:5], v[88:89] op_sel:[0,0,1] op_sel_hi:[1,0,0]
	v_pk_fma_f32 v[88:89], v[36:37], s[4:5], v[88:89] op_sel:[0,0,1] op_sel_hi:[1,0,0] neg_lo:[0,0,1] neg_hi:[0,0,1]
	v_mov_b32_e32 v94, v90
	v_mov_b32_e32 v95, v89
	v_pk_add_f32 v[104:105], v[94:95], v[92:93]
	v_pk_mul_f32 v[92:93], v[52:53], s[24:25] op_sel_hi:[1,0]
	v_mov_b32_e32 v112, v110
	v_pk_fma_f32 v[94:95], v[48:49], s[20:21], v[92:93] op_sel:[0,0,1] op_sel_hi:[1,0,0]
	v_pk_fma_f32 v[92:93], v[48:49], s[20:21], v[92:93] op_sel:[0,0,1] op_sel_hi:[1,0,0] neg_lo:[0,0,1] neg_hi:[0,0,1]
	v_mov_b32_e32 v106, v94
	v_mov_b32_e32 v107, v93
	v_pk_add_f32 v[104:105], v[106:107], v[104:105]
	ds_write2_b64 v8, v[102:103], v[104:105] offset0:2 offset1:3
	v_pk_mul_f32 v[102:103], v[18:19], s[18:19] op_sel_hi:[1,0]
	v_mov_b32_e32 v113, v109
	v_pk_fma_f32 v[104:105], v[16:17], s[30:31], v[102:103] op_sel:[0,0,1] op_sel_hi:[1,0,0]
	v_pk_fma_f32 v[102:103], v[16:17], s[30:31], v[102:103] op_sel:[0,0,1] op_sel_hi:[1,0,0] neg_lo:[0,0,1] neg_hi:[0,0,1]
	v_mov_b32_e32 v106, v104
	v_mov_b32_e32 v107, v103
	v_pk_add_f32 v[106:107], v[0:1], v[106:107]
	s_mov_b32 s36, 0x3f52af12
	v_pk_add_f32 v[106:107], v[112:113], v[106:107]
	v_pk_mul_f32 v[112:113], v[30:31], s[34:35] op_sel_hi:[1,0]
	v_pk_mul_f32 v[134:135], v[22:23], s[14:15] op_sel_hi:[1,0]
	v_pk_fma_f32 v[114:115], v[26:27], s[10:11], v[112:113] op_sel:[0,0,1] op_sel_hi:[1,0,0]
	v_pk_fma_f32 v[112:113], v[26:27], s[10:11], v[112:113] op_sel:[0,0,1] op_sel_hi:[1,0,0] neg_lo:[0,0,1] neg_hi:[0,0,1]
	v_mov_b32_e32 v116, v114
	v_mov_b32_e32 v117, v113
	v_pk_add_f32 v[106:107], v[116:117], v[106:107]
	v_pk_mul_f32 v[116:117], v[34:35], s[22:23] op_sel_hi:[1,0]
	s_mov_b32 s22, 0x3e750f2a
	v_pk_fma_f32 v[118:119], v[32:33], s[12:13], v[116:117] op_sel:[0,0,1] op_sel_hi:[1,0,0]
	v_pk_fma_f32 v[116:117], v[32:33], s[12:13], v[116:117] op_sel:[0,0,1] op_sel_hi:[1,0,0] neg_lo:[0,0,1] neg_hi:[0,0,1]
	v_mov_b32_e32 v120, v118
	v_mov_b32_e32 v121, v117
	v_pk_add_f32 v[106:107], v[120:121], v[106:107]
	v_pk_mul_f32 v[120:121], v[46:47], s[22:23] op_sel_hi:[1,0]
	v_pk_fma_f32 v[136:137], v[20:21], s[12:13], v[134:135] op_sel:[0,0,1] op_sel_hi:[1,0,0]
	v_pk_fma_f32 v[122:123], v[36:37], s[26:27], v[120:121] op_sel:[0,0,1] op_sel_hi:[1,0,0]
	v_pk_fma_f32 v[120:121], v[36:37], s[26:27], v[120:121] op_sel:[0,0,1] op_sel_hi:[1,0,0] neg_lo:[0,0,1] neg_hi:[0,0,1]
	v_mov_b32_e32 v124, v122
	v_mov_b32_e32 v125, v121
	v_pk_add_f32 v[106:107], v[124:125], v[106:107]
	v_pk_mul_f32 v[124:125], v[52:53], s[36:37] op_sel_hi:[1,0]
	v_pk_fma_f32 v[134:135], v[20:21], s[12:13], v[134:135] op_sel:[0,0,1] op_sel_hi:[1,0,0] neg_lo:[0,0,1] neg_hi:[0,0,1]
	v_pk_fma_f32 v[126:127], v[48:49], s[4:5], v[124:125] op_sel:[0,0,1] op_sel_hi:[1,0,0]
	v_pk_fma_f32 v[124:125], v[48:49], s[4:5], v[124:125] op_sel:[0,0,1] op_sel_hi:[1,0,0] neg_lo:[0,0,1] neg_hi:[0,0,1]
	v_mov_b32_e32 v128, v126
	v_mov_b32_e32 v129, v125
	v_pk_add_f32 v[106:107], v[128:129], v[106:107]
	v_pk_mul_f32 v[128:129], v[18:19], s[24:25] op_sel_hi:[1,0]
	v_mov_b32_e32 v138, v136
	v_pk_fma_f32 v[130:131], v[16:17], s[20:21], v[128:129] op_sel:[0,0,1] op_sel_hi:[1,0,0]
	v_pk_fma_f32 v[128:129], v[16:17], s[20:21], v[128:129] op_sel:[0,0,1] op_sel_hi:[1,0,0] neg_lo:[0,0,1] neg_hi:[0,0,1]
	v_mov_b32_e32 v132, v130
	v_mov_b32_e32 v133, v129
	v_pk_add_f32 v[132:133], v[0:1], v[132:133]
	v_mov_b32_e32 v139, v135
	v_pk_add_f32 v[132:133], v[138:139], v[132:133]
	v_pk_mul_f32 v[138:139], v[30:31], s[16:17] op_sel_hi:[1,0]
	v_pk_mul_f32 v[18:19], v[18:19], s[28:29] op_sel_hi:[1,0]
	v_pk_fma_f32 v[140:141], v[26:27], s[4:5], v[138:139] op_sel:[0,0,1] op_sel_hi:[1,0,0]
	v_pk_fma_f32 v[138:139], v[26:27], s[4:5], v[138:139] op_sel:[0,0,1] op_sel_hi:[1,0,0] neg_lo:[0,0,1] neg_hi:[0,0,1]
	v_mov_b32_e32 v142, v140
	v_mov_b32_e32 v143, v139
	v_pk_add_f32 v[132:133], v[142:143], v[132:133]
	v_pk_mul_f32 v[142:143], v[34:35], s[22:23] op_sel_hi:[1,0]
	v_pk_mul_f32 v[30:31], v[30:31], s[24:25] op_sel_hi:[1,0]
	v_pk_fma_f32 v[144:145], v[32:33], s[26:27], v[142:143] op_sel:[0,0,1] op_sel_hi:[1,0,0]
	v_pk_fma_f32 v[142:143], v[32:33], s[26:27], v[142:143] op_sel:[0,0,1] op_sel_hi:[1,0,0] neg_lo:[0,0,1] neg_hi:[0,0,1]
	v_mov_b32_e32 v146, v144
	v_mov_b32_e32 v147, v143
	v_pk_add_f32 v[132:133], v[146:147], v[132:133]
	v_pk_mul_f32 v[146:147], v[46:47], s[34:35] op_sel_hi:[1,0]
	v_mov_b32_e32 v3, v5
	v_pk_fma_f32 v[148:149], v[36:37], s[10:11], v[146:147] op_sel:[0,0,1] op_sel_hi:[1,0,0]
	v_pk_fma_f32 v[146:147], v[36:37], s[10:11], v[146:147] op_sel:[0,0,1] op_sel_hi:[1,0,0] neg_lo:[0,0,1] neg_hi:[0,0,1]
	v_mov_b32_e32 v150, v148
	v_mov_b32_e32 v151, v147
	v_pk_add_f32 v[132:133], v[150:151], v[132:133]
	v_pk_mul_f32 v[150:151], v[52:53], s[18:19] op_sel_hi:[1,0]
	v_mov_b32_e32 v7, v9
	v_pk_fma_f32 v[152:153], v[48:49], s[30:31], v[150:151] op_sel:[0,0,1] op_sel_hi:[1,0,0]
	v_pk_fma_f32 v[150:151], v[48:49], s[30:31], v[150:151] op_sel:[0,0,1] op_sel_hi:[1,0,0] neg_lo:[0,0,1] neg_hi:[0,0,1]
	v_mov_b32_e32 v154, v152
	v_mov_b32_e32 v155, v151
	v_pk_add_f32 v[132:133], v[154:155], v[132:133]
	ds_write2_b64 v8, v[106:107], v[132:133] offset0:4 offset1:5
	v_pk_fma_f32 v[106:107], v[16:17], s[26:27], v[18:19] op_sel:[0,0,1] op_sel_hi:[1,0,0]
	v_pk_fma_f32 v[16:17], v[16:17], s[26:27], v[18:19] op_sel:[0,0,1] op_sel_hi:[1,0,0] neg_lo:[0,0,1] neg_hi:[0,0,1]
	v_pk_mul_f32 v[18:19], v[22:23], s[34:35] op_sel_hi:[1,0]
	v_pk_add_f32 v[2:3], v[0:1], v[2:3]
	v_pk_fma_f32 v[22:23], v[20:21], s[10:11], v[18:19] op_sel:[0,0,1] op_sel_hi:[1,0,0]
	v_pk_fma_f32 v[18:19], v[20:21], s[10:11], v[18:19] op_sel:[0,0,1] op_sel_hi:[1,0,0] neg_lo:[0,0,1] neg_hi:[0,0,1]
	v_mov_b32_e32 v20, v106
	v_mov_b32_e32 v21, v17
	v_pk_add_f32 v[20:21], v[0:1], v[20:21]
	v_mov_b32_e32 v132, v22
	v_mov_b32_e32 v133, v19
	v_pk_add_f32 v[20:21], v[132:133], v[20:21]
	v_pk_fma_f32 v[132:133], v[26:27], s[20:21], v[30:31] op_sel:[0,0,1] op_sel_hi:[1,0,0]
	v_pk_fma_f32 v[26:27], v[26:27], s[20:21], v[30:31] op_sel:[0,0,1] op_sel_hi:[1,0,0] neg_lo:[0,0,1] neg_hi:[0,0,1]
	v_pk_mul_f32 v[30:31], v[34:35], s[36:37] op_sel_hi:[1,0]
	v_mov_b32_e32 v17, v107
	v_pk_fma_f32 v[34:35], v[32:33], s[4:5], v[30:31] op_sel:[0,0,1] op_sel_hi:[1,0,0]
	v_pk_fma_f32 v[30:31], v[32:33], s[4:5], v[30:31] op_sel:[0,0,1] op_sel_hi:[1,0,0] neg_lo:[0,0,1] neg_hi:[0,0,1]
	v_pk_mul_f32 v[32:33], v[46:47], s[18:19] op_sel_hi:[1,0]
	v_mov_b32_e32 v19, v23
	v_pk_fma_f32 v[46:47], v[36:37], s[30:31], v[32:33] op_sel:[0,0,1] op_sel_hi:[1,0,0]
	v_pk_fma_f32 v[32:33], v[36:37], s[30:31], v[32:33] op_sel:[0,0,1] op_sel_hi:[1,0,0] neg_lo:[0,0,1] neg_hi:[0,0,1]
	v_pk_mul_f32 v[36:37], v[52:53], s[14:15] op_sel_hi:[1,0]
	v_pk_add_f32 v[16:17], v[0:1], v[16:17]
	v_pk_fma_f32 v[52:53], v[48:49], s[12:13], v[36:37] op_sel:[0,0,1] op_sel_hi:[1,0,0]
	v_pk_fma_f32 v[36:37], v[48:49], s[12:13], v[36:37] op_sel:[0,0,1] op_sel_hi:[1,0,0] neg_lo:[0,0,1] neg_hi:[0,0,1]
	v_mov_b32_e32 v48, v132
	v_mov_b32_e32 v49, v27
	v_pk_add_f32 v[16:17], v[18:19], v[16:17]
	v_mov_b32_e32 v27, v133
	v_pk_add_f32 v[20:21], v[48:49], v[20:21]
	v_mov_b32_e32 v48, v34
	v_mov_b32_e32 v49, v31
	v_mov_b32_e32 v31, v35
	v_pk_add_f32 v[16:17], v[26:27], v[16:17]
	v_pk_add_f32 v[20:21], v[48:49], v[20:21]
	v_mov_b32_e32 v48, v46
	v_mov_b32_e32 v49, v33
	v_mov_b32_e32 v33, v47
	v_pk_add_f32 v[16:17], v[30:31], v[16:17]
	;; [unrolled: 5-line block ×3, first 2 shown]
	v_pk_add_f32 v[2:3], v[6:7], v[2:3]
	v_pk_add_f32 v[20:21], v[48:49], v[20:21]
	;; [unrolled: 1-line block ×3, first 2 shown]
	v_mov_b32_e32 v129, v131
	v_mov_b32_e32 v103, v105
	v_pk_add_f32 v[2:3], v[14:15], v[2:3]
	v_mov_b32_e32 v73, v75
	v_mov_b32_e32 v61, v59
	ds_write2_b64 v8, v[20:21], v[16:17] offset0:6 offset1:7
	v_mov_b32_e32 v135, v137
	v_pk_add_f32 v[16:17], v[0:1], v[128:129]
	v_mov_b32_e32 v109, v111
	v_pk_add_f32 v[18:19], v[0:1], v[102:103]
	v_pk_add_f32 v[2:3], v[50:51], v[2:3]
	v_mov_b32_e32 v79, v81
	v_pk_add_f32 v[4:5], v[0:1], v[72:73]
	;; [unrolled: 3-line block ×3, first 2 shown]
	v_mov_b32_e32 v139, v141
	v_pk_add_f32 v[18:19], v[108:109], v[18:19]
	v_mov_b32_e32 v113, v115
	v_pk_add_f32 v[2:3], v[56:57], v[2:3]
	v_pk_add_f32 v[6:7], v[78:79], v[4:5]
	v_mov_b32_e32 v77, v83
	v_mov_b32_e32 v45, v55
	v_pk_add_f32 v[0:1], v[66:67], v[0:1]
	v_mov_b32_e32 v143, v145
	v_pk_add_f32 v[16:17], v[138:139], v[16:17]
	;; [unrolled: 2-line block ×3, first 2 shown]
	v_pk_add_f32 v[4:5], v[62:63], v[2:3]
	v_mov_b32_e32 v85, v87
	v_pk_add_f32 v[2:3], v[76:77], v[6:7]
	v_mov_b32_e32 v25, v29
	;; [unrolled: 2-line block ×10, first 2 shown]
	v_pk_add_f32 v[0:1], v[10:11], v[0:1]
	v_pk_add_f32 v[16:17], v[150:151], v[16:17]
	;; [unrolled: 1-line block ×5, first 2 shown]
	ds_write2_b64 v8, v[16:17], v[18:19] offset0:8 offset1:9
	ds_write2_b64 v8, v[2:3], v[0:1] offset0:10 offset1:11
	ds_write_b64 v8, v[4:5] offset:96
	s_waitcnt lgkmcnt(0)
	s_barrier
	ds_read2_b64 v[12:15], v100 offset0:93 offset1:161
	ds_read2_b64 v[8:11], v99 offset0:101 offset1:186
	;; [unrolled: 1-line block ×5, first 2 shown]
	ds_read_b64 v[46:47], v185
	ds_read_b64 v[20:21], v43 offset:6392
	v_cmp_gt_u32_e32 vcc, 17, v42
                                        ; implicit-def: $vgpr22
                                        ; implicit-def: $vgpr16
                                        ; implicit-def: $vgpr24
                                        ; implicit-def: $vgpr26
	s_and_saveexec_b64 s[4:5], vcc
	s_cbranch_execz .LBB0_22
; %bb.21:
	v_add_u32_e32 v4, 0x600, v43
	ds_read2_b64 v[16:19], v97 offset0:6 offset1:227
	ds_read2_b64 v[4:7], v4 offset0:12 offset1:233
	s_waitcnt lgkmcnt(1)
	v_mov_b32_e32 v24, v17
	s_waitcnt lgkmcnt(0)
	v_mov_b32_e32 v22, v7
	v_mov_b32_e32 v26, v19
.LBB0_22:
	s_or_b64 exec, exec, s[4:5]
	s_movk_i32 s10, 0x4f
	v_add_u16_e32 v7, 0x44, v42
	v_mul_lo_u16_sdwa v17, v7, s10 dst_sel:DWORD dst_unused:UNUSED_PAD src0_sel:BYTE_0 src1_sel:DWORD
	v_lshrrev_b16_e32 v17, 10, v17
	v_mul_lo_u16_e32 v19, 13, v17
	v_sub_u16_e32 v7, v7, v19
	v_add_u16_e32 v19, 0x88, v42
	v_mul_lo_u16_sdwa v23, v19, s10 dst_sel:DWORD dst_unused:UNUSED_PAD src0_sel:BYTE_0 src1_sel:DWORD
	v_lshrrev_b16_e32 v83, 10, v23
	v_add_u32_e32 v48, 0xcc, v42
	v_mul_lo_u16_e32 v23, 13, v83
	s_movk_i32 s4, 0x4ec5
	v_sub_u16_e32 v84, v19, v23
	v_mul_u32_u24_sdwa v23, v48, s4 dst_sel:DWORD dst_unused:UNUSED_PAD src0_sel:WORD_0 src1_sel:DWORD
	v_lshrrev_b32_e32 v23, 18, v23
	v_mov_b32_e32 v82, 3
	v_mul_lo_u16_e32 v23, 13, v23
	v_mul_u32_u24_sdwa v19, v84, v82 dst_sel:DWORD dst_unused:UNUSED_PAD src0_sel:BYTE_0 src1_sel:DWORD
	v_sub_u16_e32 v49, v48, v23
	v_lshlrev_b32_e32 v19, 3, v19
	v_mul_u32_u24_e32 v23, 3, v49
	global_load_dwordx2 v[28:29], v19, s[8:9] offset:16
	global_load_dwordx4 v[50:53], v19, s[8:9]
	v_lshlrev_b32_e32 v19, 3, v23
	global_load_dwordx2 v[44:45], v19, s[8:9] offset:16
	global_load_dwordx4 v[54:57], v19, s[8:9]
	v_mul_u32_u24_sdwa v19, v7, v82 dst_sel:DWORD dst_unused:UNUSED_PAD src0_sel:BYTE_0 src1_sel:DWORD
	v_lshlrev_b32_e32 v19, 3, v19
	global_load_dwordx4 v[58:61], v19, s[8:9]
	global_load_dwordx2 v[66:67], v19, s[8:9] offset:16
	v_mul_lo_u16_sdwa v19, v42, s10 dst_sel:DWORD dst_unused:UNUSED_PAD src0_sel:BYTE_0 src1_sel:DWORD
	v_lshrrev_b16_e32 v19, 10, v19
	v_mul_lo_u16_e32 v23, 13, v19
	v_sub_u16_e32 v23, v42, v23
	v_mul_u32_u24_sdwa v25, v23, v82 dst_sel:DWORD dst_unused:UNUSED_PAD src0_sel:BYTE_0 src1_sel:DWORD
	v_lshlrev_b32_e32 v25, 3, v25
	global_load_dwordx4 v[62:65], v25, s[8:9]
	global_load_dwordx2 v[68:69], v25, s[8:9] offset:16
	s_movk_i32 s11, 0x1a0
	v_mad_u32_u24 v19, v19, s11, 0
	v_lshlrev_b32_sdwa v23, v82, v23 dst_sel:DWORD dst_unused:UNUSED_PAD src0_sel:DWORD src1_sel:BYTE_0
	v_mad_u32_u24 v17, v17, s11, 0
	v_lshlrev_b32_sdwa v7, v82, v7 dst_sel:DWORD dst_unused:UNUSED_PAD src0_sel:DWORD src1_sel:BYTE_0
	v_add3_u32 v85, v19, v23, v96
	v_add3_u32 v86, v17, v7, v96
	s_waitcnt lgkmcnt(0)
	s_barrier
	s_waitcnt vmcnt(7)
	v_pk_mul_f32 v[74:75], v[20:21], v[28:29] op_sel:[1,0]
	s_waitcnt vmcnt(6)
	v_pk_mul_f32 v[70:71], v[50:51], v[8:9] op_sel:[0,1]
	v_pk_mul_f32 v[72:73], v[52:53], v[36:37] op_sel:[0,1]
	s_waitcnt vmcnt(4)
	v_pk_mul_f32 v[22:23], v[22:23], v[54:55] op_sel_hi:[0,1]
	v_pk_mul_f32 v[24:25], v[24:25], v[56:57] op_sel_hi:[0,1]
	;; [unrolled: 1-line block ×3, first 2 shown]
	s_waitcnt vmcnt(3)
	v_pk_mul_f32 v[76:77], v[58:59], v[14:15] op_sel:[0,1]
	v_pk_fma_f32 v[80:81], v[50:51], v[8:9], v[70:71] op_sel:[0,0,1] op_sel_hi:[1,0,0] neg_lo:[1,0,0] neg_hi:[1,0,0]
	v_pk_fma_f32 v[8:9], v[50:51], v[8:9], v[70:71] op_sel:[0,0,1] op_sel_hi:[1,0,0]
	v_pk_fma_f32 v[50:51], v[52:53], v[36:37], v[72:73] op_sel:[0,0,1] op_sel_hi:[1,0,0] neg_lo:[1,0,0] neg_hi:[1,0,0]
	v_pk_fma_f32 v[36:37], v[52:53], v[36:37], v[72:73] op_sel:[0,0,1] op_sel_hi:[1,0,0]
	;; [unrolled: 2-line block ×6, first 2 shown]
	v_pk_fma_f32 v[54:55], v[58:59], v[14:15], v[76:77] op_sel:[0,0,1] op_sel_hi:[1,1,0]
	v_pk_fma_f32 v[14:15], v[58:59], v[14:15], v[76:77] op_sel:[0,0,1] op_sel_hi:[1,0,0] neg_lo:[1,0,0] neg_hi:[1,0,0]
	v_mov_b32_e32 v9, v81
	v_mov_b32_e32 v37, v51
	;; [unrolled: 1-line block ×7, first 2 shown]
	v_pk_add_f32 v[22:23], v[32:33], v[36:37] neg_lo:[0,1] neg_hi:[0,1]
	v_pk_add_f32 v[14:15], v[8:9], v[20:21] neg_lo:[0,1] neg_hi:[0,1]
	;; [unrolled: 1-line block ×4, first 2 shown]
	v_pk_add_f32 v[20:21], v[22:23], v[14:15] op_sel:[0,1] op_sel_hi:[1,0] neg_lo:[0,1] neg_hi:[0,1]
	v_pk_add_f32 v[36:37], v[22:23], v[14:15] op_sel:[0,1] op_sel_hi:[1,0]
	v_pk_fma_f32 v[4:5], v[4:5], 2.0, v[24:25] op_sel_hi:[1,0,1] neg_lo:[0,0,1] neg_hi:[0,0,1]
	v_pk_fma_f32 v[6:7], v[6:7], 2.0, v[16:17] op_sel_hi:[1,0,1] neg_lo:[0,0,1] neg_hi:[0,0,1]
	v_pk_mul_f32 v[78:79], v[60:61], v[34:35] op_sel:[0,1]
	v_mov_b32_e32 v37, v21
	v_pk_add_f32 v[26:27], v[4:5], v[6:7] neg_lo:[0,1] neg_hi:[0,1]
	v_pk_fma_f32 v[32:33], v[32:33], 2.0, v[22:23] op_sel_hi:[1,0,1] neg_lo:[0,0,1] neg_hi:[0,0,1]
	v_pk_add_f32 v[28:29], v[24:25], v[16:17] op_sel:[0,1] op_sel_hi:[1,0] neg_lo:[0,1] neg_hi:[0,1]
	v_pk_add_f32 v[44:45], v[24:25], v[16:17] op_sel:[0,1] op_sel_hi:[1,0]
	v_pk_fma_f32 v[16:17], v[22:23], 2.0, v[36:37] op_sel_hi:[1,0,1] neg_lo:[0,0,1] neg_hi:[0,0,1]
	v_pk_fma_f32 v[22:23], v[4:5], 2.0, v[26:27] op_sel_hi:[1,0,1] neg_lo:[0,0,1] neg_hi:[0,0,1]
	v_pk_fma_f32 v[4:5], v[60:61], v[34:35], v[78:79] op_sel:[0,0,1] op_sel_hi:[1,1,0]
	v_pk_fma_f32 v[6:7], v[60:61], v[34:35], v[78:79] op_sel:[0,0,1] op_sel_hi:[1,0,0] neg_lo:[1,0,0] neg_hi:[1,0,0]
	v_pk_fma_f32 v[8:9], v[8:9], 2.0, v[14:15] op_sel_hi:[1,0,1] neg_lo:[0,0,1] neg_hi:[0,0,1]
	v_mov_b32_e32 v5, v7
	s_waitcnt vmcnt(2)
	v_pk_mul_f32 v[6:7], v[66:67], v[2:3] op_sel:[0,1]
	v_pk_add_f32 v[18:19], v[32:33], v[8:9] neg_lo:[0,1] neg_hi:[0,1]
	v_pk_fma_f32 v[8:9], v[66:67], v[2:3], v[6:7] op_sel:[0,0,1] op_sel_hi:[1,1,0]
	v_pk_fma_f32 v[2:3], v[66:67], v[2:3], v[6:7] op_sel:[0,0,1] op_sel_hi:[1,0,0] neg_lo:[1,0,0] neg_hi:[1,0,0]
	v_pk_add_f32 v[50:51], v[30:31], v[4:5] neg_lo:[0,1] neg_hi:[0,1]
	v_mov_b32_e32 v9, v3
	v_pk_fma_f32 v[4:5], v[30:31], 2.0, v[50:51] op_sel_hi:[1,0,1] neg_lo:[0,0,1] neg_hi:[0,0,1]
	v_pk_add_f32 v[30:31], v[54:55], v[8:9] neg_lo:[0,1] neg_hi:[0,1]
	v_pk_fma_f32 v[14:15], v[32:33], 2.0, v[18:19] op_sel_hi:[1,0,1] neg_lo:[0,0,1] neg_hi:[0,0,1]
	v_pk_fma_f32 v[2:3], v[54:55], 2.0, v[30:31] op_sel_hi:[1,0,1] neg_lo:[0,0,1] neg_hi:[0,0,1]
	v_pk_add_f32 v[34:35], v[50:51], v[30:31] op_sel:[0,1] op_sel_hi:[1,0]
	v_pk_add_f32 v[2:3], v[4:5], v[2:3] neg_lo:[0,1] neg_hi:[0,1]
	v_mov_b32_e32 v45, v29
	v_pk_fma_f32 v[6:7], v[4:5], 2.0, v[2:3] op_sel_hi:[1,0,1] neg_lo:[0,0,1] neg_hi:[0,0,1]
	s_waitcnt vmcnt(1)
	v_pk_mul_f32 v[4:5], v[62:63], v[12:13] op_sel_hi:[1,0]
	v_pk_fma_f32 v[24:25], v[24:25], 2.0, v[44:45] op_sel_hi:[1,0,1] neg_lo:[0,0,1] neg_hi:[0,0,1]
	v_pk_fma_f32 v[8:9], v[62:63], v[12:13], v[4:5] op_sel:[0,1,1] op_sel_hi:[1,1,0] neg_lo:[0,0,1] neg_hi:[0,0,1]
	v_pk_fma_f32 v[4:5], v[62:63], v[12:13], v[4:5] op_sel:[0,1,1] op_sel_hi:[1,1,0]
	v_pk_mul_f32 v[12:13], v[64:65], v[10:11] op_sel:[0,1]
	v_mov_b32_e32 v4, v1
	v_pk_fma_f32 v[32:33], v[64:65], v[10:11], v[12:13] op_sel:[0,0,1] op_sel_hi:[1,1,0]
	v_pk_fma_f32 v[10:11], v[64:65], v[10:11], v[12:13] op_sel:[0,0,1] op_sel_hi:[1,0,0] neg_lo:[1,0,0] neg_hi:[1,0,0]
	v_mov_b32_e32 v9, v5
	v_mov_b32_e32 v33, v11
	s_waitcnt vmcnt(0)
	v_pk_mul_f32 v[10:11], v[68:69], v[0:1] op_sel_hi:[1,0]
	s_nop 0
	v_pk_fma_f32 v[12:13], v[68:69], v[4:5], v[10:11] op_sel:[0,0,1] op_sel_hi:[1,1,0] neg_lo:[0,0,1] neg_hi:[0,0,1]
	v_pk_fma_f32 v[0:1], v[68:69], v[0:1], v[10:11] op_sel:[0,1,1] op_sel_hi:[1,1,0]
	s_nop 0
	v_mov_b32_e32 v13, v1
	v_pk_add_f32 v[0:1], v[46:47], v[32:33] neg_lo:[0,1] neg_hi:[0,1]
	v_pk_add_f32 v[12:13], v[8:9], v[12:13] neg_lo:[0,1] neg_hi:[0,1]
	v_pk_fma_f32 v[32:33], v[46:47], 2.0, v[0:1] op_sel_hi:[1,0,1] neg_lo:[0,0,1] neg_hi:[0,0,1]
	v_fma_f32 v4, v5, 2.0, -v13
	v_fma_f32 v5, v8, 2.0, -v12
	v_pk_add_f32 v[10:11], v[32:33], v[4:5] neg_lo:[0,1] neg_hi:[0,1]
	v_pk_add_f32 v[46:47], v[0:1], v[12:13]
	v_pk_add_f32 v[4:5], v[0:1], v[12:13] neg_lo:[0,1] neg_hi:[0,1]
	v_pk_add_f32 v[12:13], v[50:51], v[30:31] op_sel:[0,1] op_sel_hi:[1,0] neg_lo:[0,1] neg_hi:[0,1]
	v_mov_b32_e32 v47, v5
	v_mov_b32_e32 v35, v13
	v_mad_u32_u24 v4, v83, s11, 0
	v_lshlrev_b32_sdwa v12, v82, v84 dst_sel:DWORD dst_unused:UNUSED_PAD src0_sel:DWORD src1_sel:BYTE_0
	v_pk_fma_f32 v[32:33], v[32:33], 2.0, v[10:11] op_sel_hi:[1,0,1] neg_lo:[0,0,1] neg_hi:[0,0,1]
	v_pk_fma_f32 v[8:9], v[0:1], 2.0, v[46:47] op_sel_hi:[1,0,1] neg_lo:[0,0,1] neg_hi:[0,0,1]
	;; [unrolled: 1-line block ×3, first 2 shown]
	v_add3_u32 v4, v4, v12, v96
	ds_write2_b64 v85, v[32:33], v[8:9] offset1:13
	ds_write2_b64 v85, v[10:11], v[46:47] offset0:26 offset1:39
	ds_write2_b64 v86, v[6:7], v[0:1] offset1:13
	ds_write2_b64 v86, v[2:3], v[34:35] offset0:26 offset1:39
	;; [unrolled: 2-line block ×3, first 2 shown]
	s_and_saveexec_b64 s[4:5], vcc
	s_cbranch_execz .LBB0_24
; %bb.23:
	v_mul_lo_u16_sdwa v4, v48, s10 dst_sel:DWORD dst_unused:UNUSED_PAD src0_sel:BYTE_0 src1_sel:DWORD
	v_lshrrev_b16_e32 v4, 10, v4
	v_mad_u32_u24 v4, v4, s11, 0
	v_lshlrev_b32_e32 v12, 3, v49
	v_add3_u32 v4, v4, v12, v96
	ds_write2_b64 v4, v[22:23], v[24:25] offset1:13
	ds_write2_b64 v4, v[26:27], v[44:45] offset0:26 offset1:39
.LBB0_24:
	s_or_b64 exec, exec, s[4:5]
	v_cmp_gt_u32_e32 vcc, 52, v42
	s_waitcnt lgkmcnt(0)
	s_barrier
	s_and_saveexec_b64 s[4:5], vcc
	s_cbranch_execz .LBB0_26
; %bb.25:
	v_add_u32_e32 v12, 0x800, v43
	v_add_u32_e32 v16, 0x1800, v43
	ds_read_b64 v[32:33], v185
	ds_read2_b64 v[8:11], v43 offset0:52 offset1:104
	ds_read2_b64 v[4:7], v43 offset0:156 offset1:208
	;; [unrolled: 1-line block ×4, first 2 shown]
	v_add_u32_e32 v24, 0x1000, v43
	ds_read2_b64 v[28:31], v16 offset0:12 offset1:64
	ds_read2_b64 v[20:23], v24 offset0:60 offset1:112
	v_add_u32_e32 v16, 0xc00, v43
	ds_read2_b64 v[16:19], v16 offset0:84 offset1:136
	ds_read2_b64 v[24:27], v24 offset0:164 offset1:216
	s_waitcnt lgkmcnt(4)
	v_mov_b32_e32 v34, v12
	s_waitcnt lgkmcnt(3)
	v_mov_b32_e32 v44, v28
	;; [unrolled: 2-line block ×3, first 2 shown]
	v_mov_b32_e32 v46, v4
.LBB0_26:
	s_or_b64 exec, exec, s[4:5]
	s_waitcnt lgkmcnt(0)
	s_barrier
	s_and_saveexec_b64 s[4:5], vcc
	s_cbranch_execz .LBB0_28
; %bb.27:
	v_lshlrev_b32_e32 v4, 4, v42
	v_add_u32_e32 v12, 0xfffffcc0, v4
	v_cndmask_b32_e32 v48, v12, v4, vcc
	v_mov_b32_e32 v49, 0
	v_lshl_add_u64 v[80:81], v[48:49], 3, s[8:9]
	global_load_dwordx4 v[48:51], v[80:81], off offset:312
	global_load_dwordx4 v[52:55], v[80:81], off offset:424
	;; [unrolled: 1-line block ×8, first 2 shown]
	v_mov_b32_e32 v4, v9
	v_mov_b32_e32 v12, v31
	;; [unrolled: 1-line block ×10, first 2 shown]
	s_mov_b32 s38, 0xbf763a35
	s_mov_b32 s20, 0xbe8c1d8e
	;; [unrolled: 1-line block ×23, first 2 shown]
	s_waitcnt vmcnt(7)
	v_pk_mul_f32 v[92:93], v[4:5], v[48:49] op_sel_hi:[0,1]
	s_waitcnt vmcnt(6)
	v_pk_mul_f32 v[12:13], v[12:13], v[54:55] op_sel_hi:[0,1]
	v_pk_mul_f32 v[94:95], v[20:21], v[50:51] op_sel_hi:[0,1]
	;; [unrolled: 1-line block ×3, first 2 shown]
	s_waitcnt vmcnt(5)
	v_pk_mul_f32 v[80:81], v[80:81], v[56:57] op_sel_hi:[0,1]
	s_waitcnt vmcnt(4)
	v_pk_mul_f32 v[28:29], v[26:27], v[62:63] op_sel:[1,0]
	v_pk_mul_f32 v[82:83], v[82:83], v[58:59] op_sel_hi:[0,1]
	v_pk_mul_f32 v[96:97], v[24:25], v[60:61] op_sel:[1,0]
	s_waitcnt vmcnt(3)
	v_pk_mul_f32 v[84:85], v[84:85], v[64:65] op_sel_hi:[0,1]
	s_waitcnt vmcnt(2)
	v_pk_mul_f32 v[98:99], v[22:23], v[70:71] op_sel:[1,0]
	v_pk_mul_f32 v[86:87], v[86:87], v[66:67] op_sel_hi:[0,1]
	v_pk_mul_f32 v[88:89], v[88:89], v[68:69] op_sel_hi:[0,1]
	s_waitcnt vmcnt(1)
	v_pk_mul_f32 v[90:91], v[90:91], v[72:73] op_sel_hi:[0,1]
	s_waitcnt vmcnt(0)
	v_pk_mul_f32 v[100:101], v[18:19], v[78:79] op_sel:[1,0]
	v_pk_mul_f32 v[102:103], v[14:15], v[74:75] op_sel:[1,0]
	v_pk_mul_f32 v[104:105], v[16:17], v[76:77] op_sel:[1,0]
	v_pk_fma_f32 v[4:5], v[30:31], v[54:55], v[12:13] op_sel:[0,0,1] op_sel_hi:[1,1,0]
	v_pk_fma_f32 v[54:55], v[30:31], v[54:55], v[12:13] op_sel:[0,0,1] op_sel_hi:[0,1,0] neg_lo:[1,0,0] neg_hi:[1,0,0]
	v_pk_fma_f32 v[12:13], v[44:45], v[52:53], v[20:21] op_sel:[0,0,1] op_sel_hi:[1,1,0]
	v_pk_fma_f32 v[44:45], v[44:45], v[52:53], v[20:21] op_sel:[0,0,1] op_sel_hi:[0,1,0] neg_lo:[1,0,0] neg_hi:[1,0,0]
	;; [unrolled: 2-line block ×15, first 2 shown]
	v_mov_b32_e32 v5, v55
	v_mov_b32_e32 v35, v49
	v_pk_fma_f32 v[8:9], v[10:11], v[50:51], v[94:95] op_sel:[0,0,1] op_sel_hi:[1,1,0]
	v_pk_fma_f32 v[10:11], v[10:11], v[50:51], v[94:95] op_sel:[0,0,1] op_sel_hi:[0,1,0] neg_lo:[1,0,0] neg_hi:[1,0,0]
	v_mov_b32_e32 v19, v71
	v_pk_add_f32 v[70:71], v[34:35], v[4:5] neg_lo:[0,1] neg_hi:[0,1]
	v_mov_b32_e32 v13, v45
	v_mov_b32_e32 v3, v67
	;; [unrolled: 1-line block ×3, first 2 shown]
	v_pk_add_f32 v[66:67], v[34:35], v[4:5]
	v_pk_mul_f32 v[72:73], v[70:71], s[38:39] op_sel_hi:[1,0]
	v_mov_b32_e32 v29, v69
	v_mov_b32_e32 v17, v75
	v_pk_add_f32 v[68:69], v[8:9], v[12:13] neg_lo:[0,1] neg_hi:[0,1]
	v_pk_fma_f32 v[74:75], v[66:67], s[20:21], v[72:73] op_sel:[0,0,1] op_sel_hi:[1,0,0]
	v_pk_fma_f32 v[72:73], v[66:67], s[20:21], v[72:73] op_sel:[0,0,1] op_sel_hi:[1,0,0] neg_lo:[0,0,1] neg_hi:[0,0,1]
	v_mov_b32_e32 v21, v53
	v_mov_b32_e32 v15, v47
	;; [unrolled: 1-line block ×3, first 2 shown]
	v_pk_add_f32 v[64:65], v[8:9], v[12:13]
	v_pk_mul_f32 v[76:77], v[68:69], s[40:41] op_sel_hi:[1,0]
	v_mov_b32_e32 v78, v74
	v_mov_b32_e32 v79, v73
	v_mov_b32_e32 v25, v63
	v_pk_add_f32 v[62:63], v[14:15], v[20:21] neg_lo:[0,1] neg_hi:[0,1]
	v_pk_add_f32 v[80:81], v[32:33], v[78:79]
	v_pk_fma_f32 v[78:79], v[64:65], s[24:25], v[76:77] op_sel:[0,0,1] op_sel_hi:[1,0,0]
	v_pk_fma_f32 v[76:77], v[64:65], s[24:25], v[76:77] op_sel:[0,0,1] op_sel_hi:[1,0,0] neg_lo:[0,0,1] neg_hi:[0,0,1]
	v_mov_b32_e32 v27, v61
	v_mov_b32_e32 v31, v57
	v_pk_add_f32 v[60:61], v[14:15], v[20:21]
	v_pk_mul_f32 v[82:83], v[62:63], s[36:37] op_sel_hi:[1,0]
	v_mov_b32_e32 v84, v78
	v_mov_b32_e32 v85, v77
	;; [unrolled: 1-line block ×3, first 2 shown]
	v_pk_add_f32 v[58:59], v[30:31], v[26:27] neg_lo:[0,1] neg_hi:[0,1]
	v_pk_add_f32 v[84:85], v[84:85], v[80:81]
	v_pk_fma_f32 v[80:81], v[60:61], s[8:9], v[82:83] op_sel:[0,0,1] op_sel_hi:[1,0,0]
	v_pk_fma_f32 v[82:83], v[60:61], s[8:9], v[82:83] op_sel:[0,0,1] op_sel_hi:[1,0,0] neg_lo:[0,0,1] neg_hi:[0,0,1]
	v_pk_add_f32 v[56:57], v[30:31], v[26:27]
	v_pk_mul_f32 v[86:87], v[58:59], s[14:15] op_sel_hi:[1,0]
	v_mov_b32_e32 v88, v80
	v_mov_b32_e32 v89, v83
	v_pk_add_f32 v[54:55], v[6:7], v[24:25] neg_lo:[0,1] neg_hi:[0,1]
	v_pk_add_f32 v[88:89], v[88:89], v[84:85]
	v_pk_fma_f32 v[84:85], v[56:57], s[12:13], v[86:87] op_sel:[0,0,1] op_sel_hi:[1,0,0]
	v_pk_fma_f32 v[86:87], v[56:57], s[12:13], v[86:87] op_sel:[0,0,1] op_sel_hi:[1,0,0] neg_lo:[0,0,1] neg_hi:[0,0,1]
	v_mov_b32_e32 v23, v37
	v_pk_add_f32 v[52:53], v[6:7], v[24:25]
	v_pk_mul_f32 v[90:91], v[54:55], s[28:29] op_sel_hi:[1,0]
	v_mov_b32_e32 v92, v84
	v_mov_b32_e32 v93, v87
	v_pk_add_f32 v[50:51], v[0:1], v[22:23] neg_lo:[0,1] neg_hi:[0,1]
	v_pk_add_f32 v[92:93], v[92:93], v[88:89]
	v_pk_fma_f32 v[88:89], v[52:53], s[26:27], v[90:91] op_sel:[0,0,1] op_sel_hi:[1,0,0]
	v_pk_fma_f32 v[90:91], v[52:53], s[26:27], v[90:91] op_sel:[0,0,1] op_sel_hi:[1,0,0] neg_lo:[0,0,1] neg_hi:[0,0,1]
	v_pk_add_f32 v[48:49], v[0:1], v[22:23]
	v_pk_mul_f32 v[94:95], v[50:51], s[54:55] op_sel_hi:[1,0]
	v_mov_b32_e32 v96, v88
	v_mov_b32_e32 v97, v91
	v_pk_add_f32 v[46:47], v[2:3], v[28:29] neg_lo:[0,1] neg_hi:[0,1]
	v_pk_add_f32 v[96:97], v[96:97], v[92:93]
	v_pk_fma_f32 v[92:93], v[48:49], s[22:23], v[94:95] op_sel:[0,0,1] op_sel_hi:[1,0,0]
	v_pk_fma_f32 v[94:95], v[48:49], s[22:23], v[94:95] op_sel:[0,0,1] op_sel_hi:[1,0,0] neg_lo:[0,0,1] neg_hi:[0,0,1]
	;; [unrolled: 8-line block ×3, first 2 shown]
	v_pk_add_f32 v[10:11], v[16:17], v[18:19]
	v_pk_mul_f32 v[102:103], v[36:37], s[30:31] op_sel_hi:[1,0]
	v_mov_b32_e32 v104, v96
	v_mov_b32_e32 v105, v99
	v_pk_add_f32 v[104:105], v[104:105], v[100:101]
	v_pk_fma_f32 v[100:101], v[10:11], s[16:17], v[102:103] op_sel:[0,0,1] op_sel_hi:[1,0,0]
	v_pk_fma_f32 v[102:103], v[10:11], s[16:17], v[102:103] op_sel:[0,0,1] op_sel_hi:[1,0,0] neg_lo:[0,0,1] neg_hi:[0,0,1]
	v_mov_b32_e32 v106, v100
	v_mov_b32_e32 v107, v103
	v_pk_add_f32 v[136:137], v[106:107], v[104:105]
	v_pk_mul_f32 v[104:105], v[70:71], s[30:31] op_sel_hi:[1,0]
	v_add_u32_e32 v73, 0x800, v43
	v_pk_fma_f32 v[106:107], v[66:67], s[16:17], v[104:105] op_sel:[0,0,1] op_sel_hi:[1,0,0]
	v_pk_fma_f32 v[104:105], v[66:67], s[16:17], v[104:105] op_sel:[0,0,1] op_sel_hi:[1,0,0] neg_lo:[0,0,1] neg_hi:[0,0,1]
	v_mov_b32_e32 v108, v106
	v_mov_b32_e32 v109, v105
	v_pk_add_f32 v[112:113], v[32:33], v[108:109]
	v_pk_mul_f32 v[108:109], v[68:69], s[34:35] op_sel_hi:[1,0]
	v_pk_mul_f32 v[142:143], v[68:69], s[50:51] op_sel_hi:[1,0]
	v_pk_fma_f32 v[110:111], v[64:65], s[20:21], v[108:109] op_sel:[0,0,1] op_sel_hi:[1,0,0]
	v_pk_fma_f32 v[108:109], v[64:65], s[20:21], v[108:109] op_sel:[0,0,1] op_sel_hi:[1,0,0] neg_lo:[0,0,1] neg_hi:[0,0,1]
	v_mov_b32_e32 v114, v110
	v_mov_b32_e32 v115, v109
	v_pk_add_f32 v[116:117], v[114:115], v[112:113]
	v_pk_mul_f32 v[114:115], v[62:63], s[18:19] op_sel_hi:[1,0]
	v_pk_fma_f32 v[144:145], v[64:65], s[12:13], v[142:143] op_sel:[0,0,1] op_sel_hi:[1,0,0]
	v_pk_fma_f32 v[112:113], v[60:61], s[10:11], v[114:115] op_sel:[0,0,1] op_sel_hi:[1,0,0]
	v_pk_fma_f32 v[114:115], v[60:61], s[10:11], v[114:115] op_sel:[0,0,1] op_sel_hi:[1,0,0] neg_lo:[0,0,1] neg_hi:[0,0,1]
	v_mov_b32_e32 v118, v112
	v_mov_b32_e32 v119, v115
	v_pk_add_f32 v[120:121], v[118:119], v[116:117]
	v_pk_mul_f32 v[118:119], v[58:59], s[42:43] op_sel_hi:[1,0]
	v_pk_fma_f32 v[142:143], v[64:65], s[12:13], v[142:143] op_sel:[0,0,1] op_sel_hi:[1,0,0] neg_lo:[0,0,1] neg_hi:[0,0,1]
	v_pk_fma_f32 v[116:117], v[56:57], s[24:25], v[118:119] op_sel:[0,0,1] op_sel_hi:[1,0,0]
	v_pk_fma_f32 v[118:119], v[56:57], s[24:25], v[118:119] op_sel:[0,0,1] op_sel_hi:[1,0,0] neg_lo:[0,0,1] neg_hi:[0,0,1]
	v_mov_b32_e32 v122, v116
	v_mov_b32_e32 v123, v119
	v_pk_add_f32 v[124:125], v[122:123], v[120:121]
	v_pk_mul_f32 v[122:123], v[54:55], s[54:55] op_sel_hi:[1,0]
	v_mov_b32_e32 v146, v144
	v_pk_fma_f32 v[120:121], v[52:53], s[22:23], v[122:123] op_sel:[0,0,1] op_sel_hi:[1,0,0]
	v_pk_fma_f32 v[122:123], v[52:53], s[22:23], v[122:123] op_sel:[0,0,1] op_sel_hi:[1,0,0] neg_lo:[0,0,1] neg_hi:[0,0,1]
	v_mov_b32_e32 v126, v120
	v_mov_b32_e32 v127, v123
	v_pk_add_f32 v[128:129], v[126:127], v[124:125]
	v_pk_mul_f32 v[126:127], v[50:51], s[52:53] op_sel_hi:[1,0]
	v_mov_b32_e32 v147, v143
	v_pk_fma_f32 v[124:125], v[48:49], s[8:9], v[126:127] op_sel:[0,0,1] op_sel_hi:[1,0,0]
	v_pk_fma_f32 v[126:127], v[48:49], s[8:9], v[126:127] op_sel:[0,0,1] op_sel_hi:[1,0,0] neg_lo:[0,0,1] neg_hi:[0,0,1]
	v_mov_b32_e32 v130, v124
	v_mov_b32_e32 v131, v127
	v_pk_add_f32 v[132:133], v[130:131], v[128:129]
	v_pk_mul_f32 v[130:131], v[46:47], s[28:29] op_sel_hi:[1,0]
	v_pk_mul_f32 v[176:177], v[68:69], s[48:49] op_sel_hi:[1,0]
	v_pk_fma_f32 v[128:129], v[44:45], s[26:27], v[130:131] op_sel:[0,0,1] op_sel_hi:[1,0,0]
	v_pk_fma_f32 v[130:131], v[44:45], s[26:27], v[130:131] op_sel:[0,0,1] op_sel_hi:[1,0,0] neg_lo:[0,0,1] neg_hi:[0,0,1]
	v_mov_b32_e32 v134, v128
	v_mov_b32_e32 v135, v131
	v_pk_add_f32 v[138:139], v[134:135], v[132:133]
	v_pk_mul_f32 v[134:135], v[36:37], s[50:51] op_sel_hi:[1,0]
	v_pk_fma_f32 v[178:179], v[64:65], s[10:11], v[176:177] op_sel:[0,0,1] op_sel_hi:[1,0,0]
	v_pk_fma_f32 v[132:133], v[10:11], s[12:13], v[134:135] op_sel:[0,0,1] op_sel_hi:[1,0,0]
	v_pk_fma_f32 v[134:135], v[10:11], s[12:13], v[134:135] op_sel:[0,0,1] op_sel_hi:[1,0,0] neg_lo:[0,0,1] neg_hi:[0,0,1]
	v_mov_b32_e32 v140, v132
	v_mov_b32_e32 v141, v135
	v_pk_add_f32 v[138:139], v[140:141], v[138:139]
	ds_write2_b64 v73, v[136:137], v[138:139] offset0:4 offset1:56
	v_pk_mul_f32 v[136:137], v[70:71], s[42:43] op_sel_hi:[1,0]
	v_pk_fma_f32 v[176:177], v[64:65], s[10:11], v[176:177] op_sel:[0,0,1] op_sel_hi:[1,0,0] neg_lo:[0,0,1] neg_hi:[0,0,1]
	v_pk_fma_f32 v[138:139], v[66:67], s[24:25], v[136:137] op_sel:[0,0,1] op_sel_hi:[1,0,0]
	v_pk_fma_f32 v[136:137], v[66:67], s[24:25], v[136:137] op_sel:[0,0,1] op_sel_hi:[1,0,0] neg_lo:[0,0,1] neg_hi:[0,0,1]
	v_mov_b32_e32 v140, v138
	v_mov_b32_e32 v141, v137
	v_pk_add_f32 v[140:141], v[32:33], v[140:141]
	v_mov_b32_e32 v180, v178
	v_pk_add_f32 v[140:141], v[146:147], v[140:141]
	v_pk_mul_f32 v[146:147], v[62:63], s[46:47] op_sel_hi:[1,0]
	v_mov_b32_e32 v181, v177
	v_pk_fma_f32 v[148:149], v[60:61], s[22:23], v[146:147] op_sel:[0,0,1] op_sel_hi:[1,0,0]
	v_pk_fma_f32 v[146:147], v[60:61], s[22:23], v[146:147] op_sel:[0,0,1] op_sel_hi:[1,0,0] neg_lo:[0,0,1] neg_hi:[0,0,1]
	v_mov_b32_e32 v150, v148
	v_mov_b32_e32 v151, v147
	v_pk_add_f32 v[140:141], v[150:151], v[140:141]
	v_pk_mul_f32 v[150:151], v[58:59], s[44:45] op_sel_hi:[1,0]
	v_mov_b32_e32 v137, v139
	v_pk_fma_f32 v[152:153], v[56:57], s[16:17], v[150:151] op_sel:[0,0,1] op_sel_hi:[1,0,0]
	v_pk_fma_f32 v[150:151], v[56:57], s[16:17], v[150:151] op_sel:[0,0,1] op_sel_hi:[1,0,0] neg_lo:[0,0,1] neg_hi:[0,0,1]
	v_mov_b32_e32 v154, v152
	;; [unrolled: 7-line block ×4, first 2 shown]
	v_mov_b32_e32 v163, v159
	v_pk_add_f32 v[140:141], v[162:163], v[140:141]
	v_pk_mul_f32 v[162:163], v[46:47], s[36:37] op_sel_hi:[1,0]
	v_pk_add_f32 v[136:137], v[32:33], v[136:137]
	v_pk_fma_f32 v[164:165], v[44:45], s[8:9], v[162:163] op_sel:[0,0,1] op_sel_hi:[1,0,0]
	v_pk_fma_f32 v[162:163], v[44:45], s[8:9], v[162:163] op_sel:[0,0,1] op_sel_hi:[1,0,0] neg_lo:[0,0,1] neg_hi:[0,0,1]
	v_mov_b32_e32 v166, v164
	v_mov_b32_e32 v167, v163
	v_pk_add_f32 v[140:141], v[166:167], v[140:141]
	v_pk_mul_f32 v[166:167], v[36:37], s[38:39] op_sel_hi:[1,0]
	v_pk_add_f32 v[136:137], v[142:143], v[136:137]
	v_pk_fma_f32 v[168:169], v[10:11], s[20:21], v[166:167] op_sel:[0,0,1] op_sel_hi:[1,0,0]
	v_pk_fma_f32 v[166:167], v[10:11], s[20:21], v[166:167] op_sel:[0,0,1] op_sel_hi:[1,0,0] neg_lo:[0,0,1] neg_hi:[0,0,1]
	v_mov_b32_e32 v170, v168
	v_mov_b32_e32 v171, v167
	v_pk_add_f32 v[140:141], v[170:171], v[140:141]
	v_pk_mul_f32 v[170:171], v[70:71], s[28:29] op_sel_hi:[1,0]
	v_mov_b32_e32 v147, v149
	v_pk_fma_f32 v[172:173], v[66:67], s[26:27], v[170:171] op_sel:[0,0,1] op_sel_hi:[1,0,0]
	v_pk_fma_f32 v[170:171], v[66:67], s[26:27], v[170:171] op_sel:[0,0,1] op_sel_hi:[1,0,0] neg_lo:[0,0,1] neg_hi:[0,0,1]
	v_mov_b32_e32 v174, v172
	v_mov_b32_e32 v175, v171
	v_pk_add_f32 v[174:175], v[32:33], v[174:175]
	v_mov_b32_e32 v171, v173
	v_pk_add_f32 v[174:175], v[180:181], v[174:175]
	v_pk_mul_f32 v[180:181], v[62:63], s[42:43] op_sel_hi:[1,0]
	v_pk_add_f32 v[136:137], v[146:147], v[136:137]
	v_pk_fma_f32 v[182:183], v[60:61], s[24:25], v[180:181] op_sel:[0,0,1] op_sel_hi:[1,0,0]
	v_pk_fma_f32 v[180:181], v[60:61], s[24:25], v[180:181] op_sel:[0,0,1] op_sel_hi:[1,0,0] neg_lo:[0,0,1] neg_hi:[0,0,1]
	v_mov_b32_e32 v186, v182
	v_mov_b32_e32 v187, v181
	v_pk_add_f32 v[174:175], v[186:187], v[174:175]
	v_pk_mul_f32 v[186:187], v[58:59], s[36:37] op_sel_hi:[1,0]
	v_mov_b32_e32 v181, v183
	v_pk_fma_f32 v[188:189], v[56:57], s[8:9], v[186:187] op_sel:[0,0,1] op_sel_hi:[1,0,0]
	v_pk_fma_f32 v[186:187], v[56:57], s[8:9], v[186:187] op_sel:[0,0,1] op_sel_hi:[1,0,0] neg_lo:[0,0,1] neg_hi:[0,0,1]
	v_mov_b32_e32 v190, v188
	v_mov_b32_e32 v191, v187
	v_pk_add_f32 v[174:175], v[190:191], v[174:175]
	v_pk_mul_f32 v[190:191], v[54:55], s[30:31] op_sel_hi:[1,0]
	v_mov_b32_e32 v187, v189
	v_pk_fma_f32 v[192:193], v[52:53], s[16:17], v[190:191] op_sel:[0,0,1] op_sel_hi:[1,0,0]
	v_pk_fma_f32 v[190:191], v[52:53], s[16:17], v[190:191] op_sel:[0,0,1] op_sel_hi:[1,0,0] neg_lo:[0,0,1] neg_hi:[0,0,1]
	v_mov_b32_e32 v194, v192
	v_mov_b32_e32 v195, v191
	v_pk_add_f32 v[174:175], v[194:195], v[174:175]
	v_pk_mul_f32 v[194:195], v[50:51], s[50:51] op_sel_hi:[1,0]
	v_mov_b32_e32 v151, v153
	v_pk_fma_f32 v[196:197], v[48:49], s[12:13], v[194:195] op_sel:[0,0,1] op_sel_hi:[1,0,0]
	v_pk_fma_f32 v[194:195], v[48:49], s[12:13], v[194:195] op_sel:[0,0,1] op_sel_hi:[1,0,0] neg_lo:[0,0,1] neg_hi:[0,0,1]
	v_mov_b32_e32 v198, v196
	v_mov_b32_e32 v199, v195
	v_pk_add_f32 v[174:175], v[198:199], v[174:175]
	v_pk_mul_f32 v[198:199], v[46:47], s[38:39] op_sel_hi:[1,0]
	v_mov_b32_e32 v191, v193
	v_pk_fma_f32 v[200:201], v[44:45], s[20:21], v[198:199] op_sel:[0,0,1] op_sel_hi:[1,0,0]
	v_pk_fma_f32 v[198:199], v[44:45], s[20:21], v[198:199] op_sel:[0,0,1] op_sel_hi:[1,0,0] neg_lo:[0,0,1] neg_hi:[0,0,1]
	v_mov_b32_e32 v202, v200
	v_mov_b32_e32 v203, v199
	v_pk_add_f32 v[174:175], v[202:203], v[174:175]
	v_pk_mul_f32 v[202:203], v[36:37], s[54:55] op_sel_hi:[1,0]
	v_pk_add_f32 v[136:137], v[150:151], v[136:137]
	v_pk_fma_f32 v[204:205], v[10:11], s[22:23], v[202:203] op_sel:[0,0,1] op_sel_hi:[1,0,0]
	v_pk_fma_f32 v[202:203], v[10:11], s[22:23], v[202:203] op_sel:[0,0,1] op_sel_hi:[1,0,0] neg_lo:[0,0,1] neg_hi:[0,0,1]
	v_mov_b32_e32 v206, v204
	v_mov_b32_e32 v207, v203
	v_pk_add_f32 v[174:175], v[206:207], v[174:175]
	ds_write2_b64 v73, v[140:141], v[174:175] offset0:108 offset1:160
	v_pk_add_f32 v[140:141], v[32:33], v[170:171]
	v_mov_b32_e32 v155, v157
	v_pk_add_f32 v[140:141], v[176:177], v[140:141]
	v_mov_b32_e32 v195, v197
	v_pk_add_f32 v[140:141], v[180:181], v[140:141]
	v_pk_add_f32 v[136:137], v[154:155], v[136:137]
	;; [unrolled: 1-line block ×3, first 2 shown]
	v_mov_b32_e32 v159, v161
	v_pk_add_f32 v[140:141], v[190:191], v[140:141]
	v_mov_b32_e32 v199, v201
	v_pk_add_f32 v[140:141], v[194:195], v[140:141]
	v_pk_add_f32 v[136:137], v[158:159], v[136:137]
	v_mov_b32_e32 v163, v165
	v_pk_add_f32 v[140:141], v[198:199], v[140:141]
	v_mov_b32_e32 v203, v205
	;; [unrolled: 2-line block ×3, first 2 shown]
	v_pk_add_f32 v[140:141], v[202:203], v[140:141]
	v_pk_add_f32 v[136:137], v[166:167], v[136:137]
	v_add_u32_e32 v73, 0xc00, v43
	v_pk_mul_f32 v[138:139], v[70:71], s[18:19] op_sel_hi:[1,0]
	ds_write2_b64 v73, v[140:141], v[136:137] offset0:84 offset1:136
	v_pk_fma_f32 v[136:137], v[66:67], s[10:11], v[138:139] op_sel:[0,0,1] op_sel_hi:[1,0,0]
	v_pk_fma_f32 v[138:139], v[66:67], s[10:11], v[138:139] op_sel:[0,0,1] op_sel_hi:[1,0,0] neg_lo:[0,0,1] neg_hi:[0,0,1]
	v_mov_b32_e32 v140, v136
	v_mov_b32_e32 v141, v139
	v_pk_mul_f32 v[142:143], v[68:69], s[52:53] op_sel_hi:[1,0]
	v_pk_add_f32 v[144:145], v[32:33], v[140:141]
	v_pk_fma_f32 v[140:141], v[64:65], s[8:9], v[142:143] op_sel:[0,0,1] op_sel_hi:[1,0,0]
	v_pk_fma_f32 v[142:143], v[64:65], s[8:9], v[142:143] op_sel:[0,0,1] op_sel_hi:[1,0,0] neg_lo:[0,0,1] neg_hi:[0,0,1]
	v_mov_b32_e32 v146, v140
	v_mov_b32_e32 v147, v143
	v_pk_add_f32 v[148:149], v[146:147], v[144:145]
	v_pk_mul_f32 v[146:147], v[62:63], s[14:15] op_sel_hi:[1,0]
	v_pk_mul_f32 v[174:175], v[68:69], s[46:47] op_sel_hi:[1,0]
	v_pk_fma_f32 v[144:145], v[60:61], s[12:13], v[146:147] op_sel:[0,0,1] op_sel_hi:[1,0,0]
	v_pk_fma_f32 v[146:147], v[60:61], s[12:13], v[146:147] op_sel:[0,0,1] op_sel_hi:[1,0,0] neg_lo:[0,0,1] neg_hi:[0,0,1]
	v_mov_b32_e32 v150, v144
	v_mov_b32_e32 v151, v147
	v_pk_add_f32 v[152:153], v[150:151], v[148:149]
	v_pk_mul_f32 v[150:151], v[58:59], s[46:47] op_sel_hi:[1,0]
	v_pk_mul_f32 v[208:209], v[68:69], s[30:31] op_sel_hi:[1,0]
	v_pk_fma_f32 v[148:149], v[56:57], s[22:23], v[150:151] op_sel:[0,0,1] op_sel_hi:[1,0,0]
	v_pk_fma_f32 v[150:151], v[56:57], s[22:23], v[150:151] op_sel:[0,0,1] op_sel_hi:[1,0,0] neg_lo:[0,0,1] neg_hi:[0,0,1]
	v_mov_b32_e32 v154, v148
	v_mov_b32_e32 v155, v151
	v_pk_add_f32 v[156:157], v[154:155], v[152:153]
	v_pk_mul_f32 v[154:155], v[54:55], s[38:39] op_sel_hi:[1,0]
	v_pk_fma_f32 v[210:211], v[64:65], s[16:17], v[208:209] op_sel:[0,0,1] op_sel_hi:[1,0,0]
	v_pk_fma_f32 v[152:153], v[52:53], s[20:21], v[154:155] op_sel:[0,0,1] op_sel_hi:[1,0,0]
	v_pk_fma_f32 v[154:155], v[52:53], s[20:21], v[154:155] op_sel:[0,0,1] op_sel_hi:[1,0,0] neg_lo:[0,0,1] neg_hi:[0,0,1]
	v_mov_b32_e32 v158, v152
	v_mov_b32_e32 v159, v155
	v_pk_add_f32 v[160:161], v[158:159], v[156:157]
	v_pk_mul_f32 v[158:159], v[50:51], s[30:31] op_sel_hi:[1,0]
	v_pk_fma_f32 v[208:209], v[64:65], s[16:17], v[208:209] op_sel:[0,0,1] op_sel_hi:[1,0,0] neg_lo:[0,0,1] neg_hi:[0,0,1]
	v_pk_fma_f32 v[156:157], v[48:49], s[16:17], v[158:159] op_sel:[0,0,1] op_sel_hi:[1,0,0]
	v_pk_fma_f32 v[158:159], v[48:49], s[16:17], v[158:159] op_sel:[0,0,1] op_sel_hi:[1,0,0] neg_lo:[0,0,1] neg_hi:[0,0,1]
	v_mov_b32_e32 v162, v156
	v_mov_b32_e32 v163, v159
	v_pk_add_f32 v[164:165], v[162:163], v[160:161]
	v_pk_mul_f32 v[162:163], v[46:47], s[42:43] op_sel_hi:[1,0]
	v_mov_b32_e32 v212, v210
	v_pk_fma_f32 v[160:161], v[44:45], s[24:25], v[162:163] op_sel:[0,0,1] op_sel_hi:[1,0,0]
	v_pk_fma_f32 v[162:163], v[44:45], s[24:25], v[162:163] op_sel:[0,0,1] op_sel_hi:[1,0,0] neg_lo:[0,0,1] neg_hi:[0,0,1]
	v_mov_b32_e32 v166, v160
	v_mov_b32_e32 v167, v163
	v_pk_add_f32 v[168:169], v[166:167], v[164:165]
	v_pk_mul_f32 v[166:167], v[36:37], s[28:29] op_sel_hi:[1,0]
	v_mov_b32_e32 v213, v209
	v_pk_fma_f32 v[164:165], v[10:11], s[26:27], v[166:167] op_sel:[0,0,1] op_sel_hi:[1,0,0]
	v_pk_fma_f32 v[166:167], v[10:11], s[26:27], v[166:167] op_sel:[0,0,1] op_sel_hi:[1,0,0] neg_lo:[0,0,1] neg_hi:[0,0,1]
	v_mov_b32_e32 v170, v164
	v_mov_b32_e32 v171, v167
	v_pk_add_f32 v[186:187], v[170:171], v[168:169]
	v_pk_mul_f32 v[170:171], v[70:71], s[52:53] op_sel_hi:[1,0]
	v_pk_add_f32 v[34:35], v[32:33], v[34:35]
	v_pk_fma_f32 v[168:169], v[66:67], s[8:9], v[170:171] op_sel:[0,0,1] op_sel_hi:[1,0,0]
	v_pk_fma_f32 v[170:171], v[66:67], s[8:9], v[170:171] op_sel:[0,0,1] op_sel_hi:[1,0,0] neg_lo:[0,0,1] neg_hi:[0,0,1]
	v_mov_b32_e32 v172, v168
	v_mov_b32_e32 v173, v171
	v_pk_add_f32 v[176:177], v[32:33], v[172:173]
	v_pk_fma_f32 v[172:173], v[64:65], s[22:23], v[174:175] op_sel:[0,0,1] op_sel_hi:[1,0,0]
	v_pk_fma_f32 v[174:175], v[64:65], s[22:23], v[174:175] op_sel:[0,0,1] op_sel_hi:[1,0,0] neg_lo:[0,0,1] neg_hi:[0,0,1]
	v_mov_b32_e32 v178, v172
	v_mov_b32_e32 v179, v175
	v_pk_add_f32 v[180:181], v[178:179], v[176:177]
	v_pk_mul_f32 v[178:179], v[62:63], s[30:31] op_sel_hi:[1,0]
	s_mov_b32 s30, 0x3e3c28d5
	v_pk_fma_f32 v[176:177], v[60:61], s[16:17], v[178:179] op_sel:[0,0,1] op_sel_hi:[1,0,0]
	v_pk_fma_f32 v[178:179], v[60:61], s[16:17], v[178:179] op_sel:[0,0,1] op_sel_hi:[1,0,0] neg_lo:[0,0,1] neg_hi:[0,0,1]
	v_mov_b32_e32 v182, v176
	v_mov_b32_e32 v183, v179
	v_pk_add_f32 v[188:189], v[182:183], v[180:181]
	v_pk_mul_f32 v[182:183], v[58:59], s[28:29] op_sel_hi:[1,0]
	v_pk_add_f32 v[8:9], v[34:35], v[8:9]
	v_pk_fma_f32 v[180:181], v[56:57], s[26:27], v[182:183] op_sel:[0,0,1] op_sel_hi:[1,0,0]
	v_pk_fma_f32 v[182:183], v[56:57], s[26:27], v[182:183] op_sel:[0,0,1] op_sel_hi:[1,0,0] neg_lo:[0,0,1] neg_hi:[0,0,1]
	v_mov_b32_e32 v190, v180
	v_mov_b32_e32 v191, v183
	v_pk_add_f32 v[188:189], v[190:191], v[188:189]
	v_pk_mul_f32 v[190:191], v[54:55], s[40:41] op_sel_hi:[1,0]
	v_pk_add_f32 v[8:9], v[8:9], v[14:15]
	;; [unrolled: 7-line block ×5, first 2 shown]
	v_pk_fma_f32 v[204:205], v[10:11], s[10:11], v[202:203] op_sel:[0,0,1] op_sel_hi:[1,0,0]
	v_pk_fma_f32 v[202:203], v[10:11], s[10:11], v[202:203] op_sel:[0,0,1] op_sel_hi:[1,0,0] neg_lo:[0,0,1] neg_hi:[0,0,1]
	v_mov_b32_e32 v206, v204
	v_mov_b32_e32 v207, v203
	v_pk_add_f32 v[188:189], v[206:207], v[188:189]
	ds_write2_b64 v43, v[186:187], v[188:189] offset0:52 offset1:104
	v_pk_mul_f32 v[186:187], v[70:71], s[14:15] op_sel_hi:[1,0]
	v_pk_add_f32 v[0:1], v[0:1], v[2:3]
	v_pk_fma_f32 v[188:189], v[66:67], s[12:13], v[186:187] op_sel:[0,0,1] op_sel_hi:[1,0,0]
	v_pk_fma_f32 v[186:187], v[66:67], s[12:13], v[186:187] op_sel:[0,0,1] op_sel_hi:[1,0,0] neg_lo:[0,0,1] neg_hi:[0,0,1]
	v_mov_b32_e32 v206, v188
	v_mov_b32_e32 v207, v187
	v_pk_add_f32 v[206:207], v[32:33], v[206:207]
	v_pk_mul_f32 v[70:71], v[70:71], s[46:47] op_sel_hi:[1,0]
	v_pk_add_f32 v[206:207], v[212:213], v[206:207]
	v_pk_mul_f32 v[212:213], v[62:63], s[30:31] op_sel_hi:[1,0]
	v_pk_add_f32 v[0:1], v[0:1], v[16:17]
	v_pk_fma_f32 v[214:215], v[60:61], s[26:27], v[212:213] op_sel:[0,0,1] op_sel_hi:[1,0,0]
	v_pk_fma_f32 v[212:213], v[60:61], s[26:27], v[212:213] op_sel:[0,0,1] op_sel_hi:[1,0,0] neg_lo:[0,0,1] neg_hi:[0,0,1]
	v_mov_b32_e32 v216, v214
	v_mov_b32_e32 v217, v213
	v_pk_add_f32 v[206:207], v[216:217], v[206:207]
	v_pk_mul_f32 v[216:217], v[58:59], s[34:35] op_sel_hi:[1,0]
	v_pk_mul_f32 v[68:69], v[68:69], s[28:29] op_sel_hi:[1,0]
	v_pk_fma_f32 v[218:219], v[56:57], s[20:21], v[216:217] op_sel:[0,0,1] op_sel_hi:[1,0,0]
	v_pk_fma_f32 v[216:217], v[56:57], s[20:21], v[216:217] op_sel:[0,0,1] op_sel_hi:[1,0,0] neg_lo:[0,0,1] neg_hi:[0,0,1]
	v_mov_b32_e32 v220, v218
	v_mov_b32_e32 v221, v217
	v_pk_add_f32 v[206:207], v[220:221], v[206:207]
	v_pk_mul_f32 v[220:221], v[54:55], s[36:37] op_sel_hi:[1,0]
	v_pk_add_f32 v[0:1], v[0:1], v[18:19]
	v_pk_fma_f32 v[222:223], v[52:53], s[8:9], v[220:221] op_sel:[0,0,1] op_sel_hi:[1,0,0]
	v_pk_fma_f32 v[220:221], v[52:53], s[8:9], v[220:221] op_sel:[0,0,1] op_sel_hi:[1,0,0] neg_lo:[0,0,1] neg_hi:[0,0,1]
	v_mov_b32_e32 v224, v222
	v_mov_b32_e32 v225, v221
	v_pk_add_f32 v[206:207], v[224:225], v[206:207]
	v_pk_mul_f32 v[224:225], v[50:51], s[18:19] op_sel_hi:[1,0]
	v_pk_add_f32 v[0:1], v[0:1], v[28:29]
	v_pk_fma_f32 v[226:227], v[48:49], s[10:11], v[224:225] op_sel:[0,0,1] op_sel_hi:[1,0,0]
	v_pk_fma_f32 v[224:225], v[48:49], s[10:11], v[224:225] op_sel:[0,0,1] op_sel_hi:[1,0,0] neg_lo:[0,0,1] neg_hi:[0,0,1]
	v_mov_b32_e32 v228, v226
	v_mov_b32_e32 v229, v225
	v_pk_add_f32 v[206:207], v[228:229], v[206:207]
	v_pk_mul_f32 v[228:229], v[46:47], s[46:47] op_sel_hi:[1,0]
	v_pk_mul_f32 v[62:63], v[62:63], s[34:35] op_sel_hi:[1,0]
	v_pk_fma_f32 v[230:231], v[44:45], s[22:23], v[228:229] op_sel:[0,0,1] op_sel_hi:[1,0,0]
	v_pk_fma_f32 v[228:229], v[44:45], s[22:23], v[228:229] op_sel:[0,0,1] op_sel_hi:[1,0,0] neg_lo:[0,0,1] neg_hi:[0,0,1]
	v_mov_b32_e32 v232, v230
	v_mov_b32_e32 v233, v229
	v_pk_add_f32 v[206:207], v[232:233], v[206:207]
	v_pk_mul_f32 v[232:233], v[36:37], s[42:43] op_sel_hi:[1,0]
	v_pk_add_f32 v[0:1], v[0:1], v[22:23]
	v_pk_fma_f32 v[234:235], v[10:11], s[24:25], v[232:233] op_sel:[0,0,1] op_sel_hi:[1,0,0]
	v_pk_fma_f32 v[232:233], v[10:11], s[24:25], v[232:233] op_sel:[0,0,1] op_sel_hi:[1,0,0] neg_lo:[0,0,1] neg_hi:[0,0,1]
	v_mov_b32_e32 v236, v234
	v_mov_b32_e32 v237, v233
	v_pk_add_f32 v[206:207], v[236:237], v[206:207]
	v_pk_fma_f32 v[236:237], v[66:67], s[22:23], v[70:71] op_sel:[0,0,1] op_sel_hi:[1,0,0]
	v_pk_fma_f32 v[66:67], v[66:67], s[22:23], v[70:71] op_sel:[0,0,1] op_sel_hi:[1,0,0] neg_lo:[0,0,1] neg_hi:[0,0,1]
	v_pk_fma_f32 v[70:71], v[64:65], s[26:27], v[68:69] op_sel:[0,0,1] op_sel_hi:[1,0,0]
	v_pk_fma_f32 v[64:65], v[64:65], s[26:27], v[68:69] op_sel:[0,0,1] op_sel_hi:[1,0,0] neg_lo:[0,0,1] neg_hi:[0,0,1]
	v_mov_b32_e32 v68, v236
	v_mov_b32_e32 v69, v67
	v_pk_add_f32 v[68:69], v[32:33], v[68:69]
	v_mov_b32_e32 v238, v70
	v_mov_b32_e32 v239, v65
	v_pk_add_f32 v[68:69], v[238:239], v[68:69]
	v_pk_fma_f32 v[238:239], v[60:61], s[20:21], v[62:63] op_sel:[0,0,1] op_sel_hi:[1,0,0]
	v_pk_fma_f32 v[60:61], v[60:61], s[20:21], v[62:63] op_sel:[0,0,1] op_sel_hi:[1,0,0] neg_lo:[0,0,1] neg_hi:[0,0,1]
	v_pk_add_f32 v[0:1], v[0:1], v[24:25]
	v_mov_b32_e32 v62, v238
	v_mov_b32_e32 v63, v61
	v_pk_mul_f32 v[58:59], v[58:59], s[48:49] op_sel_hi:[1,0]
	v_pk_add_f32 v[0:1], v[0:1], v[26:27]
	v_pk_add_f32 v[62:63], v[62:63], v[68:69]
	v_pk_fma_f32 v[68:69], v[56:57], s[10:11], v[58:59] op_sel:[0,0,1] op_sel_hi:[1,0,0]
	v_pk_fma_f32 v[56:57], v[56:57], s[10:11], v[58:59] op_sel:[0,0,1] op_sel_hi:[1,0,0] neg_lo:[0,0,1] neg_hi:[0,0,1]
	v_pk_add_f32 v[0:1], v[0:1], v[20:21]
	v_mov_b32_e32 v58, v68
	v_mov_b32_e32 v59, v57
	v_pk_mul_f32 v[54:55], v[54:55], s[14:15] op_sel_hi:[1,0]
	v_pk_add_f32 v[0:1], v[0:1], v[12:13]
	v_pk_add_f32 v[58:59], v[58:59], v[62:63]
	v_pk_fma_f32 v[62:63], v[52:53], s[12:13], v[54:55] op_sel:[0,0,1] op_sel_hi:[1,0,0]
	v_pk_fma_f32 v[52:53], v[52:53], s[12:13], v[54:55] op_sel:[0,0,1] op_sel_hi:[1,0,0] neg_lo:[0,0,1] neg_hi:[0,0,1]
	v_pk_add_f32 v[0:1], v[0:1], v[4:5]
	v_mov_b32_e32 v67, v237
	v_mov_b32_e32 v187, v189
	;; [unrolled: 1-line block ×4, first 2 shown]
	v_pk_mul_f32 v[50:51], v[50:51], s[42:43] op_sel_hi:[1,0]
	ds_write_b64 v185, v[0:1]
	v_mov_b32_e32 v65, v71
	v_pk_add_f32 v[0:1], v[32:33], v[66:67]
	v_pk_add_f32 v[2:3], v[32:33], v[186:187]
	v_mov_b32_e32 v209, v211
	v_pk_add_f32 v[54:55], v[54:55], v[58:59]
	v_pk_fma_f32 v[58:59], v[48:49], s[24:25], v[50:51] op_sel:[0,0,1] op_sel_hi:[1,0,0]
	v_pk_fma_f32 v[48:49], v[48:49], s[24:25], v[50:51] op_sel:[0,0,1] op_sel_hi:[1,0,0] neg_lo:[0,0,1] neg_hi:[0,0,1]
	v_pk_add_f32 v[0:1], v[64:65], v[0:1]
	v_mov_b32_e32 v61, v239
	v_pk_add_f32 v[2:3], v[208:209], v[2:3]
	v_mov_b32_e32 v213, v215
	v_mov_b32_e32 v50, v58
	;; [unrolled: 1-line block ×3, first 2 shown]
	v_pk_mul_f32 v[46:47], v[46:47], s[44:45] op_sel_hi:[1,0]
	v_pk_add_f32 v[0:1], v[60:61], v[0:1]
	v_mov_b32_e32 v57, v69
	v_pk_add_f32 v[2:3], v[212:213], v[2:3]
	v_mov_b32_e32 v217, v219
	v_pk_add_f32 v[50:51], v[50:51], v[54:55]
	v_pk_fma_f32 v[54:55], v[44:45], s[16:17], v[46:47] op_sel:[0,0,1] op_sel_hi:[1,0,0]
	v_pk_fma_f32 v[44:45], v[44:45], s[16:17], v[46:47] op_sel:[0,0,1] op_sel_hi:[1,0,0] neg_lo:[0,0,1] neg_hi:[0,0,1]
	v_pk_add_f32 v[0:1], v[56:57], v[0:1]
	v_mov_b32_e32 v53, v63
	v_pk_add_f32 v[2:3], v[216:217], v[2:3]
	v_mov_b32_e32 v221, v223
	v_mov_b32_e32 v46, v54
	;; [unrolled: 1-line block ×3, first 2 shown]
	v_pk_mul_f32 v[36:37], v[36:37], s[36:37] op_sel_hi:[1,0]
	v_pk_add_f32 v[0:1], v[52:53], v[0:1]
	v_mov_b32_e32 v49, v59
	v_pk_add_f32 v[2:3], v[220:221], v[2:3]
	v_mov_b32_e32 v225, v227
	v_pk_add_f32 v[46:47], v[46:47], v[50:51]
	v_pk_fma_f32 v[50:51], v[10:11], s[8:9], v[36:37] op_sel:[0,0,1] op_sel_hi:[1,0,0]
	v_pk_fma_f32 v[10:11], v[10:11], s[8:9], v[36:37] op_sel:[0,0,1] op_sel_hi:[1,0,0] neg_lo:[0,0,1] neg_hi:[0,0,1]
	v_pk_add_f32 v[0:1], v[48:49], v[0:1]
	v_mov_b32_e32 v45, v55
	v_pk_add_f32 v[2:3], v[224:225], v[2:3]
	v_mov_b32_e32 v229, v231
	v_mov_b32_e32 v36, v50
	;; [unrolled: 1-line block ×3, first 2 shown]
	v_pk_add_f32 v[0:1], v[44:45], v[0:1]
	v_mov_b32_e32 v11, v51
	v_pk_add_f32 v[2:3], v[228:229], v[2:3]
	v_mov_b32_e32 v233, v235
	;; [unrolled: 2-line block ×3, first 2 shown]
	v_mov_b32_e32 v73, v75
	v_add_u32_e32 v50, 0x1000, v43
	v_pk_add_f32 v[0:1], v[10:11], v[0:1]
	v_pk_add_f32 v[2:3], v[232:233], v[2:3]
	v_mov_b32_e32 v171, v169
	v_mov_b32_e32 v139, v137
	ds_write2_b64 v43, v[206:207], v[36:37] offset0:156 offset1:208
	v_mov_b32_e32 v109, v111
	v_pk_add_f32 v[36:37], v[32:33], v[104:105]
	v_mov_b32_e32 v77, v79
	v_pk_add_f32 v[46:47], v[32:33], v[72:73]
	ds_write2_b64 v50, v[0:1], v[2:3] offset0:164 offset1:216
	v_pk_add_f32 v[0:1], v[32:33], v[170:171]
	v_mov_b32_e32 v175, v173
	v_pk_add_f32 v[2:3], v[32:33], v[138:139]
	v_mov_b32_e32 v143, v141
	;; [unrolled: 2-line block ×26, first 2 shown]
	v_pk_add_f32 v[36:37], v[134:135], v[36:37]
	v_pk_add_f32 v[46:47], v[102:103], v[46:47]
	v_pk_add_f32 v[0:1], v[202:203], v[0:1]
	v_pk_add_f32 v[2:3], v[166:167], v[2:3]
	v_add_u32_e32 v4, 0x1800, v43
	ds_write2_b64 v50, v[36:37], v[46:47] offset0:60 offset1:112
	ds_write2_b64 v4, v[0:1], v[2:3] offset0:12 offset1:64
.LBB0_28:
	s_or_b64 exec, exec, s[4:5]
	s_waitcnt lgkmcnt(0)
	s_barrier
	s_and_saveexec_b64 s[4:5], s[0:1]
	s_cbranch_execz .LBB0_30
; %bb.29:
	v_mul_lo_u32 v0, s3, v40
	v_mul_lo_u32 v1, s2, v41
	v_mad_u64_u32 v[4:5], s[0:1], s2, v40, 0
	v_lshl_add_u32 v10, v42, 3, v184
	v_add3_u32 v5, v5, v1, v0
	ds_read2_b64 v[0:3], v10 offset1:68
	v_lshl_add_u64 v[4:5], v[4:5], 3, s[6:7]
	v_mov_b32_e32 v43, 0
	v_lshl_add_u64 v[8:9], v[38:39], 3, v[4:5]
	v_lshl_add_u64 v[4:5], v[42:43], 3, v[8:9]
	s_waitcnt lgkmcnt(0)
	global_store_dwordx2 v[4:5], v[0:1], off
	ds_read2_b64 v[4:7], v10 offset0:136 offset1:204
	v_add_u32_e32 v0, 0x44, v42
	v_mov_b32_e32 v1, v43
	v_lshl_add_u64 v[0:1], v[0:1], 3, v[8:9]
	global_store_dwordx2 v[0:1], v[2:3], off
	v_add_u32_e32 v0, 0x88, v42
	v_mov_b32_e32 v1, v43
	v_lshl_add_u64 v[0:1], v[0:1], 3, v[8:9]
	s_waitcnt lgkmcnt(0)
	global_store_dwordx2 v[0:1], v[4:5], off
	v_add_u32_e32 v0, 0xcc, v42
	v_mov_b32_e32 v1, v43
	v_add_u32_e32 v11, 0x800, v10
	v_lshl_add_u64 v[4:5], v[0:1], 3, v[8:9]
	ds_read2_b64 v[0:3], v11 offset0:16 offset1:84
	global_store_dwordx2 v[4:5], v[6:7], off
	v_add_u32_e32 v4, 0x110, v42
	v_mov_b32_e32 v5, v43
	v_lshl_add_u64 v[4:5], v[4:5], 3, v[8:9]
	s_waitcnt lgkmcnt(0)
	global_store_dwordx2 v[4:5], v[0:1], off
	ds_read2_b64 v[4:7], v11 offset0:152 offset1:220
	v_add_u32_e32 v0, 0x154, v42
	v_mov_b32_e32 v1, v43
	v_lshl_add_u64 v[0:1], v[0:1], 3, v[8:9]
	global_store_dwordx2 v[0:1], v[2:3], off
	v_add_u32_e32 v0, 0x198, v42
	v_mov_b32_e32 v1, v43
	v_lshl_add_u64 v[0:1], v[0:1], 3, v[8:9]
	s_waitcnt lgkmcnt(0)
	global_store_dwordx2 v[0:1], v[4:5], off
	v_add_u32_e32 v0, 0x1dc, v42
	v_mov_b32_e32 v1, v43
	v_add_u32_e32 v11, 0x1000, v10
	v_lshl_add_u64 v[4:5], v[0:1], 3, v[8:9]
	ds_read2_b64 v[0:3], v11 offset0:32 offset1:100
	global_store_dwordx2 v[4:5], v[6:7], off
	v_add_u32_e32 v4, 0x220, v42
	v_mov_b32_e32 v5, v43
	v_lshl_add_u64 v[4:5], v[4:5], 3, v[8:9]
	s_waitcnt lgkmcnt(0)
	global_store_dwordx2 v[4:5], v[0:1], off
	ds_read2_b64 v[4:7], v11 offset0:168 offset1:236
	v_add_u32_e32 v0, 0x264, v42
	v_mov_b32_e32 v1, v43
	v_lshl_add_u64 v[0:1], v[0:1], 3, v[8:9]
	global_store_dwordx2 v[0:1], v[2:3], off
	v_add_u32_e32 v0, 0x2a8, v42
	v_mov_b32_e32 v1, v43
	ds_read_b64 v[2:3], v10 offset:6528
	v_lshl_add_u64 v[0:1], v[0:1], 3, v[8:9]
	s_waitcnt lgkmcnt(1)
	global_store_dwordx2 v[0:1], v[4:5], off
	v_add_u32_e32 v0, 0x2ec, v42
	v_mov_b32_e32 v1, v43
	v_lshl_add_u64 v[0:1], v[0:1], 3, v[8:9]
	v_add_u32_e32 v42, 0x330, v42
	global_store_dwordx2 v[0:1], v[6:7], off
	v_lshl_add_u64 v[0:1], v[42:43], 3, v[8:9]
	s_waitcnt lgkmcnt(0)
	global_store_dwordx2 v[0:1], v[2:3], off
.LBB0_30:
	s_endpgm
	.section	.rodata,"a",@progbits
	.p2align	6, 0x0
	.amdhsa_kernel fft_rtc_back_len884_factors_13_4_17_wgs_204_tpt_68_halfLds_sp_op_CI_CI_unitstride_sbrr_C2R_dirReg
		.amdhsa_group_segment_fixed_size 0
		.amdhsa_private_segment_fixed_size 0
		.amdhsa_kernarg_size 104
		.amdhsa_user_sgpr_count 2
		.amdhsa_user_sgpr_dispatch_ptr 0
		.amdhsa_user_sgpr_queue_ptr 0
		.amdhsa_user_sgpr_kernarg_segment_ptr 1
		.amdhsa_user_sgpr_dispatch_id 0
		.amdhsa_user_sgpr_kernarg_preload_length 0
		.amdhsa_user_sgpr_kernarg_preload_offset 0
		.amdhsa_user_sgpr_private_segment_size 0
		.amdhsa_uses_dynamic_stack 0
		.amdhsa_enable_private_segment 0
		.amdhsa_system_sgpr_workgroup_id_x 1
		.amdhsa_system_sgpr_workgroup_id_y 0
		.amdhsa_system_sgpr_workgroup_id_z 0
		.amdhsa_system_sgpr_workgroup_info 0
		.amdhsa_system_vgpr_workitem_id 0
		.amdhsa_next_free_vgpr 240
		.amdhsa_next_free_sgpr 56
		.amdhsa_accum_offset 240
		.amdhsa_reserve_vcc 1
		.amdhsa_float_round_mode_32 0
		.amdhsa_float_round_mode_16_64 0
		.amdhsa_float_denorm_mode_32 3
		.amdhsa_float_denorm_mode_16_64 3
		.amdhsa_dx10_clamp 1
		.amdhsa_ieee_mode 1
		.amdhsa_fp16_overflow 0
		.amdhsa_tg_split 0
		.amdhsa_exception_fp_ieee_invalid_op 0
		.amdhsa_exception_fp_denorm_src 0
		.amdhsa_exception_fp_ieee_div_zero 0
		.amdhsa_exception_fp_ieee_overflow 0
		.amdhsa_exception_fp_ieee_underflow 0
		.amdhsa_exception_fp_ieee_inexact 0
		.amdhsa_exception_int_div_zero 0
	.end_amdhsa_kernel
	.text
.Lfunc_end0:
	.size	fft_rtc_back_len884_factors_13_4_17_wgs_204_tpt_68_halfLds_sp_op_CI_CI_unitstride_sbrr_C2R_dirReg, .Lfunc_end0-fft_rtc_back_len884_factors_13_4_17_wgs_204_tpt_68_halfLds_sp_op_CI_CI_unitstride_sbrr_C2R_dirReg
                                        ; -- End function
	.section	.AMDGPU.csdata,"",@progbits
; Kernel info:
; codeLenInByte = 11796
; NumSgprs: 62
; NumVgprs: 240
; NumAgprs: 0
; TotalNumVgprs: 240
; ScratchSize: 0
; MemoryBound: 0
; FloatMode: 240
; IeeeMode: 1
; LDSByteSize: 0 bytes/workgroup (compile time only)
; SGPRBlocks: 7
; VGPRBlocks: 29
; NumSGPRsForWavesPerEU: 62
; NumVGPRsForWavesPerEU: 240
; AccumOffset: 240
; Occupancy: 2
; WaveLimiterHint : 1
; COMPUTE_PGM_RSRC2:SCRATCH_EN: 0
; COMPUTE_PGM_RSRC2:USER_SGPR: 2
; COMPUTE_PGM_RSRC2:TRAP_HANDLER: 0
; COMPUTE_PGM_RSRC2:TGID_X_EN: 1
; COMPUTE_PGM_RSRC2:TGID_Y_EN: 0
; COMPUTE_PGM_RSRC2:TGID_Z_EN: 0
; COMPUTE_PGM_RSRC2:TIDIG_COMP_CNT: 0
; COMPUTE_PGM_RSRC3_GFX90A:ACCUM_OFFSET: 59
; COMPUTE_PGM_RSRC3_GFX90A:TG_SPLIT: 0
	.text
	.p2alignl 6, 3212836864
	.fill 256, 4, 3212836864
	.type	__hip_cuid_6f46819b64d6d36,@object ; @__hip_cuid_6f46819b64d6d36
	.section	.bss,"aw",@nobits
	.globl	__hip_cuid_6f46819b64d6d36
__hip_cuid_6f46819b64d6d36:
	.byte	0                               ; 0x0
	.size	__hip_cuid_6f46819b64d6d36, 1

	.ident	"AMD clang version 19.0.0git (https://github.com/RadeonOpenCompute/llvm-project roc-6.4.0 25133 c7fe45cf4b819c5991fe208aaa96edf142730f1d)"
	.section	".note.GNU-stack","",@progbits
	.addrsig
	.addrsig_sym __hip_cuid_6f46819b64d6d36
	.amdgpu_metadata
---
amdhsa.kernels:
  - .agpr_count:     0
    .args:
      - .actual_access:  read_only
        .address_space:  global
        .offset:         0
        .size:           8
        .value_kind:     global_buffer
      - .offset:         8
        .size:           8
        .value_kind:     by_value
      - .actual_access:  read_only
        .address_space:  global
        .offset:         16
        .size:           8
        .value_kind:     global_buffer
      - .actual_access:  read_only
        .address_space:  global
        .offset:         24
        .size:           8
        .value_kind:     global_buffer
      - .actual_access:  read_only
        .address_space:  global
        .offset:         32
        .size:           8
        .value_kind:     global_buffer
      - .offset:         40
        .size:           8
        .value_kind:     by_value
      - .actual_access:  read_only
        .address_space:  global
        .offset:         48
        .size:           8
        .value_kind:     global_buffer
      - .actual_access:  read_only
        .address_space:  global
        .offset:         56
        .size:           8
        .value_kind:     global_buffer
      - .offset:         64
        .size:           4
        .value_kind:     by_value
      - .actual_access:  read_only
        .address_space:  global
        .offset:         72
        .size:           8
        .value_kind:     global_buffer
      - .actual_access:  read_only
        .address_space:  global
        .offset:         80
        .size:           8
        .value_kind:     global_buffer
      - .actual_access:  read_only
        .address_space:  global
        .offset:         88
        .size:           8
        .value_kind:     global_buffer
      - .actual_access:  write_only
        .address_space:  global
        .offset:         96
        .size:           8
        .value_kind:     global_buffer
    .group_segment_fixed_size: 0
    .kernarg_segment_align: 8
    .kernarg_segment_size: 104
    .language:       OpenCL C
    .language_version:
      - 2
      - 0
    .max_flat_workgroup_size: 204
    .name:           fft_rtc_back_len884_factors_13_4_17_wgs_204_tpt_68_halfLds_sp_op_CI_CI_unitstride_sbrr_C2R_dirReg
    .private_segment_fixed_size: 0
    .sgpr_count:     62
    .sgpr_spill_count: 0
    .symbol:         fft_rtc_back_len884_factors_13_4_17_wgs_204_tpt_68_halfLds_sp_op_CI_CI_unitstride_sbrr_C2R_dirReg.kd
    .uniform_work_group_size: 1
    .uses_dynamic_stack: false
    .vgpr_count:     240
    .vgpr_spill_count: 0
    .wavefront_size: 64
amdhsa.target:   amdgcn-amd-amdhsa--gfx950
amdhsa.version:
  - 1
  - 2
...

	.end_amdgpu_metadata
